;; amdgpu-corpus repo=zjin-lcf/HeCBench kind=compiled arch=gfx1250 opt=O3
	.amdgcn_target "amdgcn-amd-amdhsa--gfx1250"
	.amdhsa_code_object_version 6
	.text
	.protected	_Z20calculateForceKernelP6atom_tidPKdS2_idiid ; -- Begin function _Z20calculateForceKernelP6atom_tidPKdS2_idiid
	.globl	_Z20calculateForceKernelP6atom_tidPKdS2_idiid
	.p2align	8
	.type	_Z20calculateForceKernelP6atom_tidPKdS2_idiid,@function
_Z20calculateForceKernelP6atom_tidPKdS2_idiid: ; @_Z20calculateForceKernelP6atom_tidPKdS2_idiid
; %bb.0:
	s_clause 0x1
	s_load_b32 s2, s[0:1], 0x54
	s_load_b32 s31, s[0:1], 0x8
	s_bfe_u32 s3, ttmp6, 0x4000c
	s_and_b32 s4, ttmp6, 15
	s_add_co_i32 s3, s3, 1
	s_getreg_b32 s5, hwreg(HW_REG_IB_STS2, 6, 4)
	s_mul_i32 s3, ttmp9, s3
	s_delay_alu instid0(SALU_CYCLE_1) | instskip(SKIP_4) | instid1(SALU_CYCLE_1)
	s_add_co_i32 s4, s4, s3
	s_wait_kmcnt 0x0
	s_and_b32 s2, s2, 0xffff
	s_cmp_eq_u32 s5, 0
	s_cselect_b32 s3, ttmp9, s4
	v_mad_u32 v67, s3, s2, v0
	s_mov_b32 s2, exec_lo
	s_delay_alu instid0(VALU_DEP_1)
	v_cmpx_gt_i32_e64 s31, v67
	s_cbranch_execz .LBB0_82
; %bb.1:
	s_clause 0x2
	s_load_b64 s[34:35], s[0:1], 0x0
	s_load_b128 s[20:23], s[0:1], 0x10
	s_load_b96 s[28:30], s[0:1], 0x20
	v_add_nc_u32_e32 v66, 1, v67
	s_wait_kmcnt 0x0
	v_mad_nc_i64_i32 v[28:29], 0x70, v67, s[34:35]
	s_clause 0x5
	global_load_b128 v[8:11], v[28:29], off offset:16
	global_load_b128 v[12:15], v[28:29], off
	global_load_b128 v[16:19], v[28:29], off offset:32
	global_load_b64 v[30:31], v[28:29], off offset:72
	global_load_b128 v[20:23], v[28:29], off offset:96
	global_load_b128 v[24:27], v[28:29], off offset:80
	s_cmp_gt_u32 s30, 2
	s_cbranch_scc0 .LBB0_4
; %bb.2:
	s_add_co_i32 s2, s30, -1
	s_delay_alu instid0(SALU_CYCLE_1)
	s_cmp_gt_u32 s2, 1
	s_cbranch_scc0 .LBB0_23
.LBB0_3:
	s_cmp_lg_u32 s30, 2
	s_cbranch_scc0 .LBB0_64
	s_branch .LBB0_82
.LBB0_4:
	v_mov_b64_e32 v[2:3], 0
	v_mov_b64_e32 v[4:5], 0
	;; [unrolled: 1-line block ×3, first 2 shown]
	v_add_nc_u32_e32 v50, 1, v67
	s_mov_b32 s24, exec_lo
	s_wait_xcnt 0x0
	s_delay_alu instid0(VALU_DEP_1)
	v_cmpx_gt_i32_e64 s31, v50
	s_cbranch_execz .LBB0_22
; %bb.5:
	v_add_nc_u64_e32 v[6:7], 0x70, v[28:29]
	v_mov_b64_e32 v[0:1], 0
	v_mov_b64_e32 v[4:5], 0
	;; [unrolled: 1-line block ×3, first 2 shown]
	s_wait_loadcnt 0x2
	v_cmp_eq_u32_e64 s25, 0, v31
	v_cmp_ne_u32_e64 s2, 0, v31
	s_mov_b32 s26, 0
	s_branch .LBB0_10
.LBB0_6:                                ;   in Loop: Header=BB0_10 Depth=1
	s_wait_xcnt 0x0
	s_or_b32 exec_lo, exec_lo, s4
.LBB0_7:                                ;   in Loop: Header=BB0_10 Depth=1
	s_delay_alu instid0(SALU_CYCLE_1)
	s_or_b32 exec_lo, exec_lo, s36
.LBB0_8:                                ;   in Loop: Header=BB0_10 Depth=1
	s_delay_alu instid0(SALU_CYCLE_1)
	s_or_b32 exec_lo, exec_lo, s33
.LBB0_9:                                ;   in Loop: Header=BB0_10 Depth=1
	s_delay_alu instid0(SALU_CYCLE_1) | instskip(SKIP_2) | instid1(VALU_DEP_2)
	s_or_b32 exec_lo, exec_lo, s27
	v_add_nc_u32_e32 v50, 1, v50
	v_add_nc_u64_e32 v[6:7], 0x70, v[6:7]
	v_cmp_le_i32_e32 vcc_lo, s31, v50
	s_or_b32 s26, vcc_lo, s26
	s_delay_alu instid0(SALU_CYCLE_1)
	s_and_not1_b32 exec_lo, exec_lo, s26
	s_cbranch_execz .LBB0_21
.LBB0_10:                               ; =>This Inner Loop Header: Depth=1
	global_load_b32 v32, v[6:7], off offset:72
	s_mov_b32 s27, exec_lo
	s_wait_loadcnt 0x0
	s_wait_xcnt 0x0
	v_cmpx_ne_u32_e64 v30, v32
	s_cbranch_execz .LBB0_9
; %bb.11:                               ;   in Loop: Header=BB0_10 Depth=1
	s_mov_b32 s3, s25
	s_and_saveexec_b32 s4, s2
	s_cbranch_execz .LBB0_13
; %bb.12:                               ;   in Loop: Header=BB0_10 Depth=1
	global_load_b32 v32, v[6:7], off offset:76
	s_and_not1_b32 s3, s25, exec_lo
	s_wait_loadcnt 0x0
	v_cmp_eq_u32_e32 vcc_lo, 0, v32
	s_and_b32 s5, vcc_lo, exec_lo
	s_delay_alu instid0(SALU_CYCLE_1)
	s_or_b32 s3, s3, s5
.LBB0_13:                               ;   in Loop: Header=BB0_10 Depth=1
	s_wait_xcnt 0x0
	s_or_b32 exec_lo, exec_lo, s4
	s_and_saveexec_b32 s33, s3
	s_cbranch_execz .LBB0_8
; %bb.14:                               ;   in Loop: Header=BB0_10 Depth=1
	global_load_b64 v[32:33], v[6:7], off offset:32
	v_mov_b64_e32 v[34:35], v[16:17]
	s_mov_b32 s3, exec_lo
	s_wait_loadcnt 0x0
	s_wait_xcnt 0x0
	v_cmpx_neq_f64_e32 v[16:17], v[32:33]
	s_cbranch_execz .LBB0_16
; %bb.15:                               ;   in Loop: Header=BB0_10 Depth=1
	v_add_f64_e32 v[32:33], v[16:17], v[32:33]
	s_delay_alu instid0(VALU_DEP_1)
	v_mul_f64_e32 v[34:35], 0.5, v[32:33]
.LBB0_16:                               ;   in Loop: Header=BB0_10 Depth=1
	s_or_b32 exec_lo, exec_lo, s3
	global_load_b64 v[32:33], v[6:7], off offset:24
	s_wait_loadcnt 0x0
	v_mul_f64_e32 v[36:37], v[10:11], v[32:33]
	s_delay_alu instid0(VALU_DEP_1) | instskip(SKIP_1) | instid1(VALU_DEP_1)
	v_cmp_gt_f64_e32 vcc_lo, 0x10000000, v[36:37]
	v_cndmask_b32_e64 v38, 0, 0x100, vcc_lo
	v_ldexp_f64 v[36:37], v[36:37], v38
	s_delay_alu instid0(VALU_DEP_1) | instskip(SKIP_1) | instid1(TRANS32_DEP_1)
	v_rsq_f64_e32 v[38:39], v[36:37]
	v_nop
	v_mul_f64_e32 v[40:41], v[36:37], v[38:39]
	v_mul_f64_e32 v[38:39], 0.5, v[38:39]
	s_delay_alu instid0(VALU_DEP_1) | instskip(NEXT) | instid1(VALU_DEP_1)
	v_fma_f64 v[42:43], -v[38:39], v[40:41], 0.5
	v_fmac_f64_e32 v[40:41], v[40:41], v[42:43]
	v_fmac_f64_e32 v[38:39], v[38:39], v[42:43]
	s_delay_alu instid0(VALU_DEP_2) | instskip(NEXT) | instid1(VALU_DEP_1)
	v_fma_f64 v[42:43], -v[40:41], v[40:41], v[36:37]
	v_fmac_f64_e32 v[40:41], v[42:43], v[38:39]
	s_delay_alu instid0(VALU_DEP_1) | instskip(NEXT) | instid1(VALU_DEP_1)
	v_fma_f64 v[42:43], -v[40:41], v[40:41], v[36:37]
	v_fmac_f64_e32 v[40:41], v[42:43], v[38:39]
	v_cndmask_b32_e64 v38, 0, 0xffffff80, vcc_lo
	v_cmp_class_f64_e64 vcc_lo, v[36:37], 0x260
	s_delay_alu instid0(VALU_DEP_2) | instskip(NEXT) | instid1(VALU_DEP_1)
	v_ldexp_f64 v[38:39], v[40:41], v38
	v_dual_cndmask_b32 v36, v38, v36 :: v_dual_cndmask_b32 v37, v39, v37
	v_cmp_neq_f64_e32 vcc_lo, v[10:11], v[32:33]
	s_delay_alu instid0(VALU_DEP_2) | instskip(SKIP_1) | instid1(VALU_DEP_2)
	v_dual_cndmask_b32 v32, v10, v36 :: v_dual_cndmask_b32 v33, v11, v37
	v_cmp_neq_f64_e32 vcc_lo, 0, v[34:35]
	v_cmp_neq_f64_e64 s3, 0, v[32:33]
	s_and_b32 s3, vcc_lo, s3
	s_wait_xcnt 0x0
	s_and_saveexec_b32 s36, s3
	s_cbranch_execz .LBB0_7
; %bb.17:                               ;   in Loop: Header=BB0_10 Depth=1
	s_clause 0x1
	global_load_b128 v[36:39], v[6:7], off
	global_load_b64 v[40:41], v[6:7], off offset:16
	s_load_b512 s[4:19], s[28:29], 0x0
	s_mov_b32 s3, exec_lo
	s_wait_loadcnt 0x1
	v_add_f64_e64 v[42:43], v[12:13], -v[36:37]
	v_add_f64_e64 v[44:45], v[14:15], -v[38:39]
	s_wait_loadcnt 0x0
	v_add_f64_e64 v[48:49], v[8:9], -v[40:41]
	s_wait_kmcnt 0x0
	s_delay_alu instid0(VALU_DEP_3) | instskip(SKIP_2) | instid1(VALU_DEP_3)
	v_fma_f64 v[36:37], s[4:5], v[42:43], 0
	v_fma_f64 v[38:39], s[10:11], v[42:43], 0
	v_fma_f64 v[40:41], s[16:17], v[42:43], 0
	v_fmac_f64_e32 v[36:37], s[6:7], v[44:45]
	s_delay_alu instid0(VALU_DEP_3) | instskip(NEXT) | instid1(VALU_DEP_3)
	v_fmac_f64_e32 v[38:39], s[12:13], v[44:45]
	v_fmac_f64_e32 v[40:41], s[18:19], v[44:45]
	s_delay_alu instid0(VALU_DEP_3) | instskip(NEXT) | instid1(VALU_DEP_3)
	v_fmac_f64_e32 v[36:37], s[8:9], v[48:49]
	v_fmac_f64_e32 v[38:39], s[14:15], v[48:49]
	s_load_b64 s[38:39], s[28:29], 0x40
	s_load_b512 s[4:19], s[22:23], 0x0
	s_wait_kmcnt 0x0
	s_delay_alu instid0(VALU_DEP_3) | instskip(NEXT) | instid1(VALU_DEP_3)
	v_fmac_f64_e32 v[40:41], s[38:39], v[48:49]
	v_rndne_f64_e32 v[36:37], v[36:37]
	s_delay_alu instid0(VALU_DEP_3) | instskip(NEXT) | instid1(VALU_DEP_3)
	v_rndne_f64_e32 v[38:39], v[38:39]
	v_rndne_f64_e32 v[54:55], v[40:41]
	s_delay_alu instid0(VALU_DEP_3) | instskip(SKIP_3) | instid1(VALU_DEP_3)
	v_fma_f64 v[46:47], v[36:37], s[10:11], 0
	v_fma_f64 v[52:53], v[36:37], s[4:5], 0
	;; [unrolled: 1-line block ×3, first 2 shown]
	s_load_b64 s[4:5], s[22:23], 0x40
	v_fmac_f64_e32 v[46:47], s[12:13], v[38:39]
	s_delay_alu instid0(VALU_DEP_3) | instskip(NEXT) | instid1(VALU_DEP_3)
	v_fmac_f64_e32 v[52:53], s[6:7], v[38:39]
	v_fmac_f64_e32 v[56:57], s[18:19], v[38:39]
	s_delay_alu instid0(VALU_DEP_3) | instskip(NEXT) | instid1(VALU_DEP_3)
	v_fmac_f64_e32 v[46:47], s[14:15], v[54:55]
	v_fmac_f64_e32 v[52:53], s[8:9], v[54:55]
	s_wait_kmcnt 0x0
	s_delay_alu instid0(VALU_DEP_3) | instskip(NEXT) | instid1(VALU_DEP_3)
	v_fmac_f64_e32 v[56:57], s[4:5], v[54:55]
	v_add_f64_e64 v[36:37], v[44:45], -v[46:47]
	s_delay_alu instid0(VALU_DEP_3) | instskip(NEXT) | instid1(VALU_DEP_3)
	v_add_f64_e64 v[40:41], v[42:43], -v[52:53]
	v_add_f64_e64 v[38:39], v[48:49], -v[56:57]
	s_delay_alu instid0(VALU_DEP_3) | instskip(NEXT) | instid1(VALU_DEP_1)
	v_mul_f64_e32 v[46:47], v[36:37], v[36:37]
	v_fmac_f64_e32 v[46:47], v[40:41], v[40:41]
	s_delay_alu instid0(VALU_DEP_1) | instskip(NEXT) | instid1(VALU_DEP_1)
	v_fmac_f64_e32 v[46:47], v[38:39], v[38:39]
	v_cmpx_nle_f64_e32 0, v[46:47]
	s_cbranch_execz .LBB0_19
; %bb.18:                               ;   in Loop: Header=BB0_10 Depth=1
	v_mul_f64_e32 v[46:47], v[44:45], v[44:45]
	v_mov_b64_e32 v[40:41], v[42:43]
	v_mov_b64_e32 v[36:37], v[44:45]
	;; [unrolled: 1-line block ×3, first 2 shown]
	s_delay_alu instid0(VALU_DEP_4) | instskip(NEXT) | instid1(VALU_DEP_1)
	v_fmac_f64_e32 v[46:47], v[42:43], v[42:43]
	v_fmac_f64_e32 v[46:47], v[48:49], v[48:49]
.LBB0_19:                               ;   in Loop: Header=BB0_10 Depth=1
	s_or_b32 exec_lo, exec_lo, s3
	s_delay_alu instid0(VALU_DEP_1) | instskip(SKIP_2) | instid1(VALU_DEP_1)
	v_cmp_gt_f64_e32 vcc_lo, 0x10000000, v[46:47]
	s_mov_b32 s4, exec_lo
	v_cndmask_b32_e64 v42, 0, 0x100, vcc_lo
	v_ldexp_f64 v[42:43], v[46:47], v42
	s_delay_alu instid0(VALU_DEP_1) | instskip(SKIP_1) | instid1(TRANS32_DEP_1)
	v_rsq_f64_e32 v[44:45], v[42:43]
	v_nop
	v_mul_f64_e32 v[48:49], v[42:43], v[44:45]
	v_mul_f64_e32 v[44:45], 0.5, v[44:45]
	s_delay_alu instid0(VALU_DEP_1) | instskip(NEXT) | instid1(VALU_DEP_1)
	v_fma_f64 v[52:53], -v[44:45], v[48:49], 0.5
	v_fmac_f64_e32 v[48:49], v[48:49], v[52:53]
	v_fmac_f64_e32 v[44:45], v[44:45], v[52:53]
	s_delay_alu instid0(VALU_DEP_2) | instskip(NEXT) | instid1(VALU_DEP_1)
	v_fma_f64 v[52:53], -v[48:49], v[48:49], v[42:43]
	v_fmac_f64_e32 v[48:49], v[52:53], v[44:45]
	s_delay_alu instid0(VALU_DEP_1) | instskip(NEXT) | instid1(VALU_DEP_1)
	v_fma_f64 v[52:53], -v[48:49], v[48:49], v[42:43]
	v_fmac_f64_e32 v[48:49], v[52:53], v[44:45]
	v_cndmask_b32_e64 v44, 0, 0xffffff80, vcc_lo
	v_cmp_class_f64_e64 vcc_lo, v[42:43], 0x260
	s_delay_alu instid0(VALU_DEP_2) | instskip(NEXT) | instid1(VALU_DEP_1)
	v_ldexp_f64 v[44:45], v[48:49], v44
	v_dual_cndmask_b32 v43, v45, v43 :: v_dual_cndmask_b32 v42, v44, v42
	s_delay_alu instid0(VALU_DEP_1)
	v_cmpx_ge_f64_e32 s[20:21], v[42:43]
	s_cbranch_execz .LBB0_6
; %bb.20:                               ;   in Loop: Header=BB0_10 Depth=1
	v_mul_f64_e32 v[34:35], v[34:35], v[34:35]
	v_mul_f64_e32 v[42:43], v[46:47], v[46:47]
	;; [unrolled: 1-line block ×13, first 2 shown]
	s_delay_alu instid0(VALU_DEP_3) | instskip(NEXT) | instid1(VALU_DEP_3)
	v_mul_f64_e32 v[48:49], v[34:35], v[34:35]
	v_mul_f64_e32 v[44:45], v[46:47], v[44:45]
	s_delay_alu instid0(VALU_DEP_3) | instskip(NEXT) | instid1(VALU_DEP_3)
	v_div_scale_f64 v[52:53], null, v[42:43], v[42:43], v[34:35]
	v_add_f64_e32 v[48:49], v[48:49], v[48:49]
	s_delay_alu instid0(VALU_DEP_2) | instskip(NEXT) | instid1(VALU_DEP_1)
	v_rcp_f64_e32 v[56:57], v[52:53]
	v_div_scale_f64 v[46:47], null, v[44:45], v[44:45], v[48:49]
	v_div_scale_f64 v[62:63], vcc_lo, v[48:49], v[44:45], v[48:49]
	s_delay_alu instid0(TRANS32_DEP_1) | instskip(NEXT) | instid1(VALU_DEP_3)
	v_fma_f64 v[60:61], -v[52:53], v[56:57], 1.0
	v_rcp_f64_e32 v[54:55], v[46:47]
	s_delay_alu instid0(VALU_DEP_1) | instskip(NEXT) | instid1(TRANS32_DEP_1)
	v_fmac_f64_e32 v[56:57], v[56:57], v[60:61]
	v_fma_f64 v[58:59], -v[46:47], v[54:55], 1.0
	s_delay_alu instid0(VALU_DEP_2) | instskip(NEXT) | instid1(VALU_DEP_2)
	v_fma_f64 v[60:61], -v[52:53], v[56:57], 1.0
	v_fmac_f64_e32 v[54:55], v[54:55], v[58:59]
	s_delay_alu instid0(VALU_DEP_2) | instskip(NEXT) | instid1(VALU_DEP_2)
	v_fmac_f64_e32 v[56:57], v[56:57], v[60:61]
	v_fma_f64 v[58:59], -v[46:47], v[54:55], 1.0
	s_delay_alu instid0(VALU_DEP_1) | instskip(SKIP_1) | instid1(VALU_DEP_2)
	v_fmac_f64_e32 v[54:55], v[54:55], v[58:59]
	v_div_scale_f64 v[58:59], s3, v[34:35], v[42:43], v[34:35]
	v_mul_f64_e32 v[60:61], v[62:63], v[54:55]
	s_delay_alu instid0(VALU_DEP_2) | instskip(NEXT) | instid1(VALU_DEP_2)
	v_mul_f64_e32 v[64:65], v[58:59], v[56:57]
	v_fma_f64 v[46:47], -v[46:47], v[60:61], v[62:63]
	s_delay_alu instid0(VALU_DEP_2) | instskip(NEXT) | instid1(VALU_DEP_2)
	v_fma_f64 v[52:53], -v[52:53], v[64:65], v[58:59]
	v_div_fmas_f64 v[46:47], v[46:47], v[54:55], v[60:61]
	s_mov_b32 vcc_lo, s3
	s_delay_alu instid0(VALU_DEP_2) | instskip(NEXT) | instid1(VALU_DEP_2)
	v_div_fmas_f64 v[52:53], v[52:53], v[56:57], v[64:65]
	v_div_fixup_f64 v[44:45], v[46:47], v[44:45], v[48:49]
	s_delay_alu instid0(VALU_DEP_2) | instskip(NEXT) | instid1(VALU_DEP_1)
	v_div_fixup_f64 v[34:35], v[52:53], v[42:43], v[34:35]
	v_add_f64_e64 v[34:35], v[44:45], -v[34:35]
	s_delay_alu instid0(VALU_DEP_1)
	v_mul_f64_e64 v[38:39], v[34:35], -v[40:41]
	v_mul_f64_e64 v[42:43], v[34:35], -v[36:37]
	;; [unrolled: 1-line block ×3, first 2 shown]
	v_fmac_f64_e32 v[0:1], v[34:35], v[40:41]
	v_fmac_f64_e32 v[4:5], v[34:35], v[36:37]
	v_fmac_f64_e32 v[2:3], v[34:35], v[32:33]
	global_atomic_add_f64 v[6:7], v[38:39], off offset:48 scope:SCOPE_DEV
	s_wait_xcnt 0x0
	global_atomic_add_f64 v[6:7], v[42:43], off offset:56 scope:SCOPE_DEV
	s_wait_xcnt 0x0
	global_atomic_add_f64 v[6:7], v[44:45], off offset:64 scope:SCOPE_DEV
	s_branch .LBB0_6
.LBB0_21:
	s_or_b32 exec_lo, exec_lo, s26
.LBB0_22:
	s_delay_alu instid0(SALU_CYCLE_1)
	s_or_b32 exec_lo, exec_lo, s24
	global_atomic_add_f64 v[28:29], v[0:1], off offset:48 scope:SCOPE_DEV
	s_wait_xcnt 0x0
	global_atomic_add_f64 v[28:29], v[4:5], off offset:56 scope:SCOPE_DEV
	s_wait_xcnt 0x0
	global_atomic_add_f64 v[28:29], v[2:3], off offset:64 scope:SCOPE_DEV
	s_add_co_i32 s2, s30, -1
	s_delay_alu instid0(SALU_CYCLE_1)
	s_cmp_gt_u32 s2, 1
	s_cbranch_scc1 .LBB0_3
.LBB0_23:
	s_cmp_lt_i32 s31, 1
	s_mov_b32 s37, 0
	s_cbranch_scc1 .LBB0_62
; %bb.24:
	s_clause 0x1
	s_load_b512 s[4:19], s[22:23], 0x0
	s_load_b64 s[2:3], s[22:23], 0x40
	s_load_b128 s[24:27], s[0:1], 0x30
	v_mov_b64_e32 v[32:33], 0x3e928af3fca7ab0c
	v_mov_b64_e32 v[34:35], 0xbe5ae600b42fdfa7
	s_mov_b64 s[38:39], 0x403b39dc41e48bfc
	s_mov_b64 s[40:41], 0x401921fb54442d18
	;; [unrolled: 1-line block ×5, first 2 shown]
	s_mov_b32 s48, s37
                                        ; implicit-def: $vgpr36_vgpr37
                                        ; implicit-def: $vgpr36_vgpr37
	;; [unrolled: 1-line block ×35, first 2 shown]
	s_wait_kmcnt 0x0
	v_mul_f64_e64 v[2:3], s[18:19], s[14:15]
	v_mul_f64_e64 v[0:1], s[2:3], s[6:7]
	;; [unrolled: 1-line block ×3, first 2 shown]
	s_cmp_lg_u32 s27, 0
	s_mul_i32 s51, s26, s26
	s_cselect_b32 s27, -1, 0
	s_cmp_gt_i32 s26, -1
	s_cselect_b32 s33, -1, 0
	s_sub_co_i32 s50, 0, s26
	s_delay_alu instid0(VALU_DEP_3) | instskip(NEXT) | instid1(VALU_DEP_3)
	v_fma_f64 v[2:3], s[12:13], s[2:3], -v[2:3]
	v_fma_f64 v[0:1], s[18:19], s[8:9], -v[0:1]
	s_delay_alu instid0(VALU_DEP_3) | instskip(SKIP_4) | instid1(VALU_DEP_4)
	v_fma_f64 v[4:5], s[14:15], s[6:7], -v[4:5]
	s_wait_loadcnt 0x3
	v_cmp_neq_f64_e64 s2, 0, v[18:19]
	s_wait_loadcnt 0x2
	v_cmp_ne_u32_e64 s3, 0, v31
	v_mul_f64_e32 v[0:1], s[10:11], v[0:1]
	s_delay_alu instid0(VALU_DEP_1) | instskip(NEXT) | instid1(VALU_DEP_1)
	v_fmac_f64_e32 v[0:1], s[4:5], v[2:3]
	v_fmac_f64_e32 v[0:1], s[16:17], v[4:5]
	s_delay_alu instid0(VALU_DEP_1) | instskip(SKIP_1) | instid1(VALU_DEP_2)
	v_div_scale_f64 v[2:3], null, v[0:1], v[0:1], 1.0
	v_div_scale_f64 v[10:11], vcc_lo, 1.0, v[0:1], 1.0
	v_rcp_f64_e32 v[4:5], v[2:3]
	v_nop
	s_delay_alu instid0(TRANS32_DEP_1) | instskip(NEXT) | instid1(VALU_DEP_1)
	v_fma_f64 v[6:7], -v[2:3], v[4:5], 1.0
	v_fmac_f64_e32 v[4:5], v[4:5], v[6:7]
	s_delay_alu instid0(VALU_DEP_1) | instskip(NEXT) | instid1(VALU_DEP_1)
	v_fma_f64 v[6:7], -v[2:3], v[4:5], 1.0
	v_fmac_f64_e32 v[4:5], v[4:5], v[6:7]
	s_delay_alu instid0(VALU_DEP_1) | instskip(NEXT) | instid1(VALU_DEP_1)
	v_mul_f64_e32 v[6:7], v[10:11], v[4:5]
	v_fma_f64 v[2:3], -v[2:3], v[6:7], v[10:11]
	s_delay_alu instid0(VALU_DEP_1) | instskip(SKIP_2) | instid1(VALU_DEP_3)
	v_div_fmas_f64 v[2:3], v[2:3], v[4:5], v[6:7]
	v_mul_f64_e64 v[4:5], s[24:25], 4.0
	v_cmp_eq_f64_e32 vcc_lo, 0, v[18:19]
	v_div_fixup_f64 v[10:11], v[2:3], v[0:1], 1.0
	s_delay_alu instid0(VALU_DEP_3) | instskip(SKIP_1) | instid1(VALU_DEP_1)
	v_dual_mul_f64 v[16:17], s[24:25], v[4:5] :: v_dual_mov_b32 v0, 0
	s_xor_b32 s52, vcc_lo, -1
	v_dual_mov_b32 v3, v0 :: v_dual_mov_b32 v4, v0
	v_dual_mov_b32 v5, v0 :: v_dual_mov_b32 v1, v0
	v_mov_b32_e32 v2, v0
	s_delay_alu instid0(VALU_DEP_2) | instskip(NEXT) | instid1(VALU_DEP_2)
	v_mov_b64_e32 v[6:7], v[4:5]
	v_mov_b64_e32 v[4:5], v[2:3]
	s_delay_alu instid0(VALU_DEP_4)
	v_mov_b64_e32 v[2:3], v[0:1]
	s_branch .LBB0_28
.LBB0_25:                               ;   in Loop: Header=BB0_28 Depth=1
	s_wait_xcnt 0x0
	s_or_b32 exec_lo, exec_lo, s54
.LBB0_26:                               ;   in Loop: Header=BB0_28 Depth=1
	s_delay_alu instid0(SALU_CYCLE_1)
	s_or_b32 exec_lo, exec_lo, s53
.LBB0_27:                               ;   in Loop: Header=BB0_28 Depth=1
	s_delay_alu instid0(SALU_CYCLE_1) | instskip(SKIP_1) | instid1(SALU_CYCLE_1)
	s_or_b32 exec_lo, exec_lo, s49
	s_add_co_i32 s48, s48, 1
	s_cmp_eq_u32 s48, s31
	s_cbranch_scc1 .LBB0_63
.LBB0_28:                               ; =>This Loop Header: Depth=1
                                        ;     Child Loop BB0_46 Depth 2
                                        ;       Child Loop BB0_49 Depth 3
                                        ;         Child Loop BB0_56 Depth 4
                                        ;       Child Loop BB0_60 Depth 3
	s_mov_b32 s4, 0
	s_and_saveexec_b32 s5, s3
	s_delay_alu instid0(SALU_CYCLE_1)
	s_xor_b32 s5, exec_lo, s5
	s_cbranch_execnz .LBB0_31
; %bb.29:                               ;   in Loop: Header=BB0_28 Depth=1
	s_or_saveexec_b32 s5, s5
	v_mov_b64_e32 v[38:39], s[48:49]
	s_xor_b32 exec_lo, exec_lo, s5
	s_cbranch_execnz .LBB0_32
.LBB0_30:                               ;   in Loop: Header=BB0_28 Depth=1
	s_or_b32 exec_lo, exec_lo, s5
	s_and_saveexec_b32 s49, s4
	s_cbranch_execz .LBB0_27
	s_branch .LBB0_35
.LBB0_31:                               ;   in Loop: Header=BB0_28 Depth=1
	s_mov_b32 s49, s37
	s_delay_alu instid0(SALU_CYCLE_1) | instskip(NEXT) | instid1(SALU_CYCLE_1)
	s_mul_u64 s[6:7], s[48:49], 0x70
	s_add_nc_u64 s[6:7], s[34:35], s[6:7]
	global_load_b32 v1, v0, s[6:7] offset:76
	s_wait_loadcnt 0x0
	v_cmp_eq_u32_e32 vcc_lo, 0, v1
	s_and_b32 s4, vcc_lo, s52
	s_delay_alu instid0(SALU_CYCLE_1)
	s_and_b32 s4, s4, exec_lo
	s_wait_xcnt 0x0
	s_or_saveexec_b32 s5, s5
	v_mov_b64_e32 v[38:39], s[48:49]
	s_xor_b32 exec_lo, exec_lo, s5
	s_cbranch_execz .LBB0_30
.LBB0_32:                               ;   in Loop: Header=BB0_28 Depth=1
	s_mov_b32 s6, s4
	s_and_saveexec_b32 s7, s2
; %bb.33:                               ;   in Loop: Header=BB0_28 Depth=1
	s_mov_b32 s49, s37
	s_or_b32 s6, s4, exec_lo
; %bb.34:                               ;   in Loop: Header=BB0_28 Depth=1
	s_or_b32 exec_lo, exec_lo, s7
	v_mov_b64_e32 v[38:39], s[48:49]
	s_and_not1_b32 s4, s4, exec_lo
	s_and_b32 s6, s6, exec_lo
	s_delay_alu instid0(SALU_CYCLE_1)
	s_or_b32 s4, s4, s6
	s_or_b32 exec_lo, exec_lo, s5
	s_and_saveexec_b32 s49, s4
	s_cbranch_execz .LBB0_27
.LBB0_35:                               ;   in Loop: Header=BB0_28 Depth=1
	v_mad_nc_u64_u32 v[36:37], 0x70, v38, s[34:35]
	v_cmp_ne_u32_e64 s4, s48, v67
	s_delay_alu instid0(VALU_DEP_2)
	v_mad_u32 v37, 0x70, v39, v37
	global_load_b64 v[44:45], v[36:37], off offset:40
	s_wait_loadcnt 0x0
	v_cmp_neq_f64_e32 vcc_lo, 0, v[44:45]
	s_and_b32 s4, s4, vcc_lo
	s_wait_xcnt 0x0
	s_and_saveexec_b32 s53, s4
	s_cbranch_execz .LBB0_26
; %bb.36:                               ;   in Loop: Header=BB0_28 Depth=1
	s_clause 0x1
	global_load_b128 v[38:41], v[36:37], off
	global_load_b64 v[42:43], v[36:37], off offset:16
	s_load_b512 s[4:19], s[28:29], 0x0
	s_wait_loadcnt 0x1
	v_add_f64_e64 v[48:49], v[12:13], -v[38:39]
	v_add_f64_e64 v[50:51], v[14:15], -v[40:41]
	s_wait_loadcnt 0x0
	v_add_f64_e64 v[52:53], v[8:9], -v[42:43]
	s_wait_kmcnt 0x0
	s_delay_alu instid0(VALU_DEP_3) | instskip(SKIP_2) | instid1(VALU_DEP_3)
	v_fma_f64 v[38:39], s[4:5], v[48:49], 0
	v_fma_f64 v[40:41], s[10:11], v[48:49], 0
	;; [unrolled: 1-line block ×3, first 2 shown]
	v_fmac_f64_e32 v[38:39], s[6:7], v[50:51]
	s_delay_alu instid0(VALU_DEP_3) | instskip(NEXT) | instid1(VALU_DEP_3)
	v_fmac_f64_e32 v[40:41], s[12:13], v[50:51]
	v_fmac_f64_e32 v[42:43], s[18:19], v[50:51]
	s_delay_alu instid0(VALU_DEP_3) | instskip(NEXT) | instid1(VALU_DEP_3)
	v_fmac_f64_e32 v[38:39], s[8:9], v[52:53]
	v_fmac_f64_e32 v[40:41], s[14:15], v[52:53]
	s_load_b64 s[54:55], s[28:29], 0x40
	s_load_b512 s[4:19], s[22:23], 0x0
	s_wait_kmcnt 0x0
	s_delay_alu instid0(VALU_DEP_3) | instskip(NEXT) | instid1(VALU_DEP_3)
	v_fmac_f64_e32 v[42:43], s[54:55], v[52:53]
	v_rndne_f64_e32 v[38:39], v[38:39]
	s_delay_alu instid0(VALU_DEP_3) | instskip(NEXT) | instid1(VALU_DEP_3)
	v_rndne_f64_e32 v[40:41], v[40:41]
	v_rndne_f64_e32 v[42:43], v[42:43]
	s_delay_alu instid0(VALU_DEP_3) | instskip(SKIP_3) | instid1(VALU_DEP_3)
	v_fma_f64 v[46:47], v[38:39], s[10:11], 0
	v_fma_f64 v[54:55], v[38:39], s[4:5], 0
	;; [unrolled: 1-line block ×3, first 2 shown]
	s_load_b64 s[4:5], s[22:23], 0x40
	v_fmac_f64_e32 v[46:47], s[12:13], v[40:41]
	s_delay_alu instid0(VALU_DEP_3) | instskip(NEXT) | instid1(VALU_DEP_3)
	v_fmac_f64_e32 v[54:55], s[6:7], v[40:41]
	v_fmac_f64_e32 v[56:57], s[18:19], v[40:41]
	s_delay_alu instid0(VALU_DEP_3) | instskip(NEXT) | instid1(VALU_DEP_3)
	v_fmac_f64_e32 v[46:47], s[14:15], v[42:43]
	v_fmac_f64_e32 v[54:55], s[8:9], v[42:43]
	s_wait_kmcnt 0x0
	s_delay_alu instid0(VALU_DEP_3) | instskip(SKIP_1) | instid1(VALU_DEP_3)
	v_fmac_f64_e32 v[56:57], s[4:5], v[42:43]
	s_mov_b32 s4, exec_lo
	v_add_f64_e64 v[38:39], v[50:51], -v[46:47]
	s_delay_alu instid0(VALU_DEP_3) | instskip(NEXT) | instid1(VALU_DEP_3)
	v_add_f64_e64 v[40:41], v[48:49], -v[54:55]
	v_add_f64_e64 v[42:43], v[52:53], -v[56:57]
	s_delay_alu instid0(VALU_DEP_3) | instskip(NEXT) | instid1(VALU_DEP_1)
	v_mul_f64_e32 v[46:47], v[38:39], v[38:39]
	v_fmac_f64_e32 v[46:47], v[40:41], v[40:41]
	s_delay_alu instid0(VALU_DEP_1) | instskip(NEXT) | instid1(VALU_DEP_1)
	v_fmac_f64_e32 v[46:47], v[42:43], v[42:43]
	v_cmpx_nle_f64_e32 0, v[46:47]
	s_cbranch_execz .LBB0_38
; %bb.37:                               ;   in Loop: Header=BB0_28 Depth=1
	v_mul_f64_e32 v[46:47], v[50:51], v[50:51]
	v_mov_b64_e32 v[40:41], v[48:49]
	v_mov_b64_e32 v[38:39], v[50:51]
	v_mov_b64_e32 v[42:43], v[52:53]
	s_delay_alu instid0(VALU_DEP_4) | instskip(NEXT) | instid1(VALU_DEP_1)
	v_fmac_f64_e32 v[46:47], v[48:49], v[48:49]
	v_fmac_f64_e32 v[46:47], v[52:53], v[52:53]
.LBB0_38:                               ;   in Loop: Header=BB0_28 Depth=1
	s_or_b32 exec_lo, exec_lo, s4
	s_delay_alu instid0(VALU_DEP_1) | instskip(SKIP_2) | instid1(VALU_DEP_1)
	v_cmp_gt_f64_e32 vcc_lo, 0x10000000, v[46:47]
	s_mov_b32 s8, exec_lo
	v_cndmask_b32_e64 v1, 0, 0x100, vcc_lo
	v_ldexp_f64 v[48:49], v[46:47], v1
	v_cndmask_b32_e64 v1, 0, 0xffffff80, vcc_lo
	s_delay_alu instid0(VALU_DEP_2) | instskip(SKIP_1) | instid1(TRANS32_DEP_1)
	v_rsq_f64_e32 v[50:51], v[48:49]
	v_cmp_class_f64_e64 vcc_lo, v[48:49], 0x260
	v_mul_f64_e32 v[52:53], v[48:49], v[50:51]
	v_mul_f64_e32 v[50:51], 0.5, v[50:51]
	s_delay_alu instid0(VALU_DEP_1) | instskip(NEXT) | instid1(VALU_DEP_1)
	v_fma_f64 v[54:55], -v[50:51], v[52:53], 0.5
	v_fmac_f64_e32 v[52:53], v[52:53], v[54:55]
	v_fmac_f64_e32 v[50:51], v[50:51], v[54:55]
	s_delay_alu instid0(VALU_DEP_2) | instskip(NEXT) | instid1(VALU_DEP_1)
	v_fma_f64 v[54:55], -v[52:53], v[52:53], v[48:49]
	v_fmac_f64_e32 v[52:53], v[54:55], v[50:51]
	s_delay_alu instid0(VALU_DEP_1) | instskip(NEXT) | instid1(VALU_DEP_1)
	v_fma_f64 v[54:55], -v[52:53], v[52:53], v[48:49]
	v_fmac_f64_e32 v[52:53], v[54:55], v[50:51]
	s_delay_alu instid0(VALU_DEP_1) | instskip(NEXT) | instid1(VALU_DEP_1)
	v_ldexp_f64 v[50:51], v[52:53], v1
	v_dual_cndmask_b32 v49, v51, v49 :: v_dual_cndmask_b32 v48, v50, v48
	s_delay_alu instid0(VALU_DEP_1)
	v_cmpx_ge_f64_e32 s[20:21], v[48:49]
	s_cbranch_execz .LBB0_42
; %bb.39:                               ;   in Loop: Header=BB0_28 Depth=1
	global_load_b32 v1, v[36:37], off offset:72
	s_mov_b32 s9, exec_lo
	s_wait_loadcnt 0x0
	v_cmpx_lt_i32_e64 v30, v1
	s_cbranch_execz .LBB0_41
; %bb.40:                               ;   in Loop: Header=BB0_28 Depth=1
	v_mul_f64_e32 v[50:51], s[24:25], v[48:49]
	v_mov_b64_e32 v[68:69], 0xbe41166337cfa789
	v_mul_f64_e32 v[44:45], v[44:45], v[18:19]
	s_delay_alu instid0(VALU_DEP_3) | instskip(SKIP_2) | instid1(VALU_DEP_3)
	v_add_f64_e64 v[52:53], |v[50:51]|, 4.0
	v_mul_f64_e64 v[58:59], v[50:51], -v[50:51]
	v_add_f64_e64 v[60:61], |v[50:51]|, |v[50:51]|
	v_rcp_f64_e32 v[54:55], v[52:53]
	s_delay_alu instid0(VALU_DEP_2) | instskip(SKIP_1) | instid1(VALU_DEP_3)
	v_cmp_ngt_f64_e64 s4, 0xc090cc00, v[58:59]
	v_mul_f64_e32 v[62:63], 0x3ff71547652b82fe, v[58:59]
	v_add_f64_e32 v[64:65], 1.0, v[60:61]
	v_cmp_nlt_f64_e32 vcc_lo, 0x40900000, v[58:59]
	s_delay_alu instid0(TRANS32_DEP_1) | instskip(NEXT) | instid1(VALU_DEP_1)
	v_fma_f64 v[56:57], -v[52:53], v[54:55], 1.0
	v_fmac_f64_e32 v[54:55], v[56:57], v[54:55]
	v_add_f64_e64 v[56:57], |v[50:51]|, -4.0
	s_delay_alu instid0(VALU_DEP_2) | instskip(NEXT) | instid1(VALU_DEP_1)
	v_fma_f64 v[52:53], -v[52:53], v[54:55], 1.0
	v_fmac_f64_e32 v[54:55], v[52:53], v[54:55]
	s_delay_alu instid0(VALU_DEP_1) | instskip(NEXT) | instid1(VALU_DEP_1)
	v_mul_f64_e32 v[52:53], v[56:57], v[54:55]
	v_add_f64_e32 v[56:57], 1.0, v[52:53]
	s_delay_alu instid0(VALU_DEP_1) | instskip(NEXT) | instid1(VALU_DEP_1)
	v_fma_f64 v[56:57], v[56:57], -4.0, |v[50:51]|
	v_fma_f64 v[56:57], -v[52:53], |v[50:51]|, v[56:57]
	s_delay_alu instid0(VALU_DEP_1) | instskip(SKIP_3) | instid1(VALU_DEP_3)
	v_fmac_f64_e32 v[52:53], v[54:55], v[56:57]
	v_rndne_f64_e32 v[54:55], v[62:63]
	v_rcp_f64_e32 v[56:57], v[64:65]
	v_mul_f64_e64 v[62:63], s[24:25], -s[24:25]
	v_fmamk_f64 v[68:69], v[52:53], 0xbe41f39d54df3c0e, v[68:69]
	s_delay_alu instid0(VALU_DEP_3) | instskip(SKIP_1) | instid1(VALU_DEP_4)
	v_fmamk_f64 v[70:71], v[54:55], 0xbfe62e42fefa39ef, v[58:59]
	v_cvt_i32_f64_e32 v1, v[54:55]
	v_mul_f64_e32 v[62:63], v[62:63], v[46:47]
	s_delay_alu instid0(VALU_DEP_4) | instskip(NEXT) | instid1(VALU_DEP_4)
	v_fmaak_f64 v[68:69], v[52:53], v[68:69], 0x3e7b45f1d9802b82
	v_fmac_f64_e32 v[70:71], 0xbc7abc9e3b39803f, v[54:55]
	s_delay_alu instid0(TRANS32_DEP_1) | instskip(NEXT) | instid1(VALU_DEP_3)
	v_fma_f64 v[72:73], -v[64:65], v[56:57], 1.0
	v_fmaak_f64 v[68:69], v[52:53], v[68:69], 0x3e6d90488a03dcdb
	s_delay_alu instid0(VALU_DEP_1) | instskip(NEXT) | instid1(VALU_DEP_1)
	v_fmaak_f64 v[68:69], v[52:53], v[68:69], 0xbeab87b02eba62d8
	v_fmaak_f64 v[68:69], v[52:53], v[68:69], 0x3e95104ba56e15f1
	v_mul_f64_e32 v[76:77], 0x3ff71547652b82fe, v[62:63]
	s_delay_alu instid0(VALU_DEP_2) | instskip(SKIP_2) | instid1(VALU_DEP_3)
	v_fmaak_f64 v[68:69], v[52:53], v[68:69], 0x3ed7f29f71c907de
	v_fmamk_f64 v[74:75], v[70:71], 0x3e5ade156a5dcb37, v[32:33]
	v_fmac_f64_e32 v[56:57], v[72:73], v[56:57]
	v_fmaak_f64 v[68:69], v[52:53], v[68:69], 0xbee78f5c2cd770fb
	s_delay_alu instid0(VALU_DEP_3) | instskip(NEXT) | instid1(VALU_DEP_2)
	v_fmaak_f64 v[72:73], v[70:71], v[74:75], 0x3ec71dee623fde64
	v_fmaak_f64 v[68:69], v[52:53], v[68:69], 0xbef995fb76d0a51a
	s_delay_alu instid0(VALU_DEP_2) | instskip(NEXT) | instid1(VALU_DEP_2)
	v_fmaak_f64 v[72:73], v[70:71], v[72:73], 0x3efa01997c89e6b0
	v_fmaak_f64 v[68:69], v[52:53], v[68:69], 0x3f23be2ec022d0ed
	s_delay_alu instid0(VALU_DEP_2) | instskip(NEXT) | instid1(VALU_DEP_2)
	v_fmaak_f64 v[72:73], v[70:71], v[72:73], 0x3f2a01a014761f6e
	v_fmaak_f64 v[68:69], v[52:53], v[68:69], 0xbf2a1deb2fdbf62e
	v_rndne_f64_e32 v[74:75], v[76:77]
	s_delay_alu instid0(VALU_DEP_3) | instskip(NEXT) | instid1(VALU_DEP_3)
	v_fmaak_f64 v[72:73], v[70:71], v[72:73], 0x3f56c16c1852b7b0
	v_fmaak_f64 v[68:69], v[52:53], v[68:69], 0xbf48d4ac3689fc43
	v_fma_f64 v[64:65], -v[64:65], v[56:57], 1.0
	s_delay_alu instid0(VALU_DEP_3) | instskip(NEXT) | instid1(VALU_DEP_3)
	v_fmaak_f64 v[72:73], v[70:71], v[72:73], 0x3f81111111122322
	v_fmaak_f64 v[68:69], v[52:53], v[68:69], 0x3f749c67192d909b
	s_delay_alu instid0(VALU_DEP_2) | instskip(NEXT) | instid1(VALU_DEP_2)
	v_fmaak_f64 v[72:73], v[70:71], v[72:73], 0x3fa55555555502a1
	v_fmaak_f64 v[68:69], v[52:53], v[68:69], 0xbf909623852ff070
	s_delay_alu instid0(VALU_DEP_2) | instskip(NEXT) | instid1(VALU_DEP_2)
	v_fmaak_f64 v[72:73], v[70:71], v[72:73], 0x3fc5555555555511
	v_fmaak_f64 v[68:69], v[52:53], v[68:69], 0x3fa3079edfadea8f
	s_delay_alu instid0(VALU_DEP_2) | instskip(SKIP_1) | instid1(VALU_DEP_3)
	v_fmaak_f64 v[72:73], v[70:71], v[72:73], 0x3fe000000000000b
	v_fmamk_f64 v[76:77], v[74:75], 0xbfe62e42fefa39ef, v[62:63]
	v_fmaak_f64 v[68:69], v[52:53], v[68:69], 0xbfb0fb06dff65910
	s_delay_alu instid0(VALU_DEP_3) | instskip(SKIP_1) | instid1(VALU_DEP_4)
	v_fma_f64 v[72:73], v[70:71], v[72:73], 1.0
	v_fmac_f64_e32 v[56:57], v[64:65], v[56:57]
	v_fmac_f64_e32 v[76:77], 0xbc7abc9e3b39803f, v[74:75]
	s_delay_alu instid0(VALU_DEP_4) | instskip(NEXT) | instid1(VALU_DEP_1)
	v_fmaak_f64 v[68:69], v[52:53], v[68:69], 0x3fb7fee004de8f32
	v_fmaak_f64 v[68:69], v[52:53], v[68:69], 0xbfb9ddb23c3dbeb3
	s_delay_alu instid0(VALU_DEP_1) | instskip(NEXT) | instid1(VALU_DEP_1)
	v_fmaak_f64 v[64:65], v[52:53], v[68:69], 0x3fb16ecefcfa6930
	v_fmaak_f64 v[64:65], v[52:53], v[64:65], 0x3f8f7f5df66fb8a3
	s_delay_alu instid0(VALU_DEP_1) | instskip(SKIP_2) | instid1(VALU_DEP_3)
	v_fmaak_f64 v[64:65], v[52:53], v[64:65], 0xbfc1df1ad154a2a8
	v_fma_f64 v[54:55], v[70:71], v[72:73], 1.0
	v_fmamk_f64 v[68:69], v[76:77], 0x3e5ade156a5dcb37, v[32:33]
	v_fmaak_f64 v[52:53], v[52:53], v[64:65], 0x3fcdd2c8b74febf8
	s_delay_alu instid0(VALU_DEP_2) | instskip(NEXT) | instid1(VALU_DEP_1)
	v_fmaak_f64 v[68:69], v[76:77], v[68:69], 0x3ec71dee623fde64
	v_fmaak_f64 v[68:69], v[76:77], v[68:69], 0x3efa01997c89e6b0
	s_delay_alu instid0(VALU_DEP_1) | instskip(NEXT) | instid1(VALU_DEP_1)
	v_fmaak_f64 v[68:69], v[76:77], v[68:69], 0x3f2a01a014761f6e
	v_fmaak_f64 v[68:69], v[76:77], v[68:69], 0x3f56c16c1852b7b0
	v_ldexp_f64 v[54:55], v[54:55], v1
	s_delay_alu instid0(VALU_DEP_2) | instskip(NEXT) | instid1(VALU_DEP_1)
	v_fmaak_f64 v[68:69], v[76:77], v[68:69], 0x3f81111111122322
	v_fmaak_f64 v[68:69], v[76:77], v[68:69], 0x3fa55555555502a1
	s_delay_alu instid0(VALU_DEP_1) | instskip(NEXT) | instid1(VALU_DEP_1)
	v_fmaak_f64 v[68:69], v[76:77], v[68:69], 0x3fc5555555555511
	v_fmaak_f64 v[68:69], v[76:77], v[68:69], 0x3fe000000000000b
	v_cndmask_b32_e32 v1, 0x7ff00000, v55, vcc_lo
	s_and_b32 vcc_lo, s4, vcc_lo
	v_cndmask_b32_e32 v54, 0, v54, vcc_lo
	v_cmp_gt_f64_e64 s5, 0, v[50:51]
	v_fma_f64 v[64:65], v[52:53], v[56:57], v[56:57]
	v_dual_fma_f64 v[58:59], -v[50:51], v[50:51], -v[58:59] :: v_dual_cndmask_b32 v55, 0, v1, s4
	v_cvt_i32_f64_e32 v1, v[74:75]
	v_cmp_ngt_f64_e64 vcc_lo, |v[50:51]|, s[38:39]
	v_cmp_ngt_f64_e64 s4, 0xc090cc00, v[62:63]
	v_fma_f64 v[60:61], -v[64:65], v[60:61], 1.0
	v_add_f64_e64 v[52:53], v[52:53], -v[64:65]
	v_fmac_f64_e32 v[54:55], v[54:55], v[58:59]
	s_delay_alu instid0(VALU_DEP_2) | instskip(SKIP_1) | instid1(VALU_DEP_2)
	v_add_f64_e32 v[52:53], v[60:61], v[52:53]
	v_fma_f64 v[60:61], v[76:77], v[68:69], 1.0
	v_fmac_f64_e32 v[64:65], v[56:57], v[52:53]
	s_delay_alu instid0(VALU_DEP_2) | instskip(SKIP_1) | instid1(VALU_DEP_3)
	v_fma_f64 v[52:53], v[76:77], v[60:61], 1.0
	v_mul_f64_e32 v[56:57], -2.0, v[44:45]
	v_mul_f64_e32 v[54:55], v[54:55], v[64:65]
	s_delay_alu instid0(VALU_DEP_3) | instskip(NEXT) | instid1(VALU_DEP_3)
	v_ldexp_f64 v[52:53], v[52:53], v1
	v_mul_f64_e32 v[50:51], s[24:25], v[56:57]
	v_mul_f64_e32 v[56:57], 0x3ffc5bf891b4ef6a, v[48:49]
	s_delay_alu instid0(VALU_DEP_4) | instskip(SKIP_1) | instid1(VALU_DEP_2)
	v_dual_cndmask_b32 v55, 0, v55 :: v_dual_cndmask_b32 v54, 0, v54
	v_cmp_nlt_f64_e32 vcc_lo, 0x40900000, v[62:63]
	v_add_f64_e64 v[58:59], -v[54:55], 2.0
	v_cndmask_b32_e32 v1, 0x7ff00000, v53, vcc_lo
	s_and_b32 vcc_lo, s4, vcc_lo
	s_delay_alu instid0(VALU_DEP_2) | instid1(SALU_CYCLE_1)
	v_dual_cndmask_b32 v52, 0, v52, vcc_lo :: v_dual_cndmask_b32 v55, v55, v59, s5
	s_delay_alu instid0(VALU_DEP_2) | instskip(SKIP_2) | instid1(VALU_DEP_3)
	v_dual_cndmask_b32 v53, 0, v1, s4 :: v_dual_cndmask_b32 v54, v54, v58, s5
	v_div_scale_f64 v[58:59], null, v[48:49], v[48:49], v[42:43]
	v_div_scale_f64 v[86:87], vcc_lo, v[40:41], v[48:49], v[40:41]
	v_mul_f64_e32 v[50:51], v[52:53], v[50:51]
	s_delay_alu instid0(VALU_DEP_4) | instskip(SKIP_3) | instid1(VALU_DEP_4)
	v_mul_f64_e32 v[44:45], v[54:55], v[44:45]
	v_div_scale_f64 v[52:53], null, v[48:49], v[48:49], v[40:41]
	v_div_scale_f64 v[54:55], null, v[48:49], v[48:49], v[38:39]
	v_rcp_f64_e32 v[70:71], v[58:59]
	v_div_scale_f64 v[60:61], null, v[56:57], v[56:57], v[50:51]
	s_delay_alu instid0(VALU_DEP_4) | instskip(NEXT) | instid1(VALU_DEP_4)
	v_div_scale_f64 v[62:63], null, v[46:47], v[46:47], v[44:45]
	v_rcp_f64_e32 v[64:65], v[52:53]
	s_delay_alu instid0(VALU_DEP_3) | instskip(NEXT) | instid1(VALU_DEP_2)
	v_rcp_f64_e32 v[68:69], v[54:55]
	v_rcp_f64_e32 v[72:73], v[60:61]
	s_delay_alu instid0(VALU_DEP_1) | instskip(SKIP_2) | instid1(TRANS32_DEP_3)
	v_rcp_f64_e32 v[74:75], v[62:63]
	v_fma_f64 v[80:81], -v[58:59], v[70:71], 1.0
	v_fma_f64 v[76:77], -v[52:53], v[64:65], 1.0
	v_fma_f64 v[78:79], -v[54:55], v[68:69], 1.0
	s_delay_alu instid0(VALU_DEP_3) | instskip(NEXT) | instid1(TRANS32_DEP_2)
	v_fmac_f64_e32 v[70:71], v[70:71], v[80:81]
	v_fma_f64 v[82:83], -v[60:61], v[72:73], 1.0
	s_delay_alu instid0(TRANS32_DEP_1)
	v_fma_f64 v[84:85], -v[62:63], v[74:75], 1.0
	v_fmac_f64_e32 v[64:65], v[64:65], v[76:77]
	v_fmac_f64_e32 v[68:69], v[68:69], v[78:79]
	v_fma_f64 v[80:81], -v[58:59], v[70:71], 1.0
	v_fmac_f64_e32 v[72:73], v[72:73], v[82:83]
	v_fmac_f64_e32 v[74:75], v[74:75], v[84:85]
	v_fma_f64 v[76:77], -v[52:53], v[64:65], 1.0
	v_fma_f64 v[78:79], -v[54:55], v[68:69], 1.0
	v_fmac_f64_e32 v[70:71], v[70:71], v[80:81]
	v_div_scale_f64 v[80:81], s6, v[50:51], v[56:57], v[50:51]
	v_fma_f64 v[82:83], -v[60:61], v[72:73], 1.0
	v_fma_f64 v[84:85], -v[62:63], v[74:75], 1.0
	v_fmac_f64_e32 v[64:65], v[64:65], v[76:77]
	v_div_scale_f64 v[76:77], s4, v[38:39], v[48:49], v[38:39]
	v_fmac_f64_e32 v[68:69], v[68:69], v[78:79]
	v_div_scale_f64 v[78:79], s5, v[42:43], v[48:49], v[42:43]
	;; [unrolled: 2-line block ×3, first 2 shown]
	v_fmac_f64_e32 v[74:75], v[74:75], v[84:85]
	v_mul_f64_e32 v[84:85], v[86:87], v[64:65]
	v_mul_f64_e32 v[88:89], v[76:77], v[68:69]
	;; [unrolled: 1-line block ×5, first 2 shown]
	v_fma_f64 v[52:53], -v[52:53], v[84:85], v[86:87]
	v_fma_f64 v[54:55], -v[54:55], v[88:89], v[76:77]
	;; [unrolled: 1-line block ×5, first 2 shown]
	v_div_fmas_f64 v[52:53], v[52:53], v[64:65], v[84:85]
	s_mov_b32 vcc_lo, s4
	v_div_fmas_f64 v[54:55], v[54:55], v[68:69], v[88:89]
	s_mov_b32 vcc_lo, s5
	;; [unrolled: 2-line block ×4, first 2 shown]
	v_div_fmas_f64 v[62:63], v[62:63], v[74:75], v[94:95]
	s_delay_alu instid0(VALU_DEP_2) | instskip(NEXT) | instid1(VALU_DEP_2)
	v_div_fixup_f64 v[50:51], v[60:61], v[56:57], v[50:51]
	v_div_fixup_f64 v[44:45], v[62:63], v[46:47], v[44:45]
	;; [unrolled: 1-line block ×3, first 2 shown]
	s_delay_alu instid0(VALU_DEP_2) | instskip(SKIP_2) | instid1(VALU_DEP_3)
	v_add_f64_e64 v[44:45], v[50:51], -v[44:45]
	v_div_fixup_f64 v[50:51], v[54:55], v[48:49], v[38:39]
	v_div_fixup_f64 v[48:49], v[58:59], v[48:49], v[42:43]
	v_mul_f64_e32 v[52:53], v[46:47], v[44:45]
	s_delay_alu instid0(VALU_DEP_3) | instskip(NEXT) | instid1(VALU_DEP_3)
	v_mul_f64_e32 v[54:55], v[50:51], v[44:45]
	v_mul_f64_e32 v[56:57], v[48:49], v[44:45]
	v_fma_f64 v[2:3], -v[46:47], v[44:45], v[2:3]
	v_fma_f64 v[4:5], -v[50:51], v[44:45], v[4:5]
	;; [unrolled: 1-line block ×3, first 2 shown]
	global_atomic_add_f64 v[36:37], v[52:53], off offset:48 scope:SCOPE_DEV
	s_wait_xcnt 0x0
	global_atomic_add_f64 v[36:37], v[54:55], off offset:56 scope:SCOPE_DEV
	s_wait_xcnt 0x0
	global_atomic_add_f64 v[36:37], v[56:57], off offset:64 scope:SCOPE_DEV
.LBB0_41:                               ;   in Loop: Header=BB0_28 Depth=1
	s_wait_xcnt 0x0
	s_or_b32 exec_lo, exec_lo, s9
.LBB0_42:                               ;   in Loop: Header=BB0_28 Depth=1
	s_delay_alu instid0(SALU_CYCLE_1) | instskip(NEXT) | instid1(SALU_CYCLE_1)
	s_or_b32 exec_lo, exec_lo, s8
	s_and_not1_b32 vcc_lo, exec_lo, s27
	s_cbranch_vccnz .LBB0_26
; %bb.43:                               ;   in Loop: Header=BB0_28 Depth=1
	global_load_b32 v1, v[36:37], off offset:72
	s_mov_b32 s54, exec_lo
	s_wait_loadcnt 0x0
	v_cmpx_lt_i32_e64 v30, v1
	s_cbranch_execz .LBB0_25
; %bb.44:                               ;   in Loop: Header=BB0_28 Depth=1
	global_load_b64 v[44:45], v[36:37], off offset:40
	s_mov_b32 s36, 0
	s_wait_loadcnt 0x0
	v_mul_f64_e32 v[44:45], v[18:19], v[44:45]
	s_delay_alu instid0(VALU_DEP_1) | instskip(NEXT) | instid1(VALU_DEP_1)
	v_mul_f64_e32 v[44:45], v[10:11], v[44:45]
	v_mul_f64_e32 v[44:45], 0x402921fb54442d18, v[44:45]
	s_branch .LBB0_46
.LBB0_45:                               ;   in Loop: Header=BB0_46 Depth=2
	s_add_co_i32 s36, s36, 1
	s_delay_alu instid0(SALU_CYCLE_1)
	s_cmp_lg_u32 s36, 3
	s_cbranch_scc0 .LBB0_25
.LBB0_46:                               ;   Parent Loop BB0_28 Depth=1
                                        ; =>  This Loop Header: Depth=2
                                        ;       Child Loop BB0_49 Depth 3
                                        ;         Child Loop BB0_56 Depth 4
                                        ;       Child Loop BB0_60 Depth 3
	s_and_not1_b32 vcc_lo, exec_lo, s33
	s_cbranch_vccnz .LBB0_45
; %bb.47:                               ;   in Loop: Header=BB0_46 Depth=2
	v_lshl_add_u64 v[46:47], s[36:37], 3, v[36:37]
	s_mov_b32 s55, 0
	s_delay_alu instid0(SALU_CYCLE_1) | instskip(SKIP_1) | instid1(SALU_CYCLE_1)
	s_cmp_lg_u32 s55, 0
	s_cselect_b32 s56, s50, 0
	s_cmp_gt_i32 s56, s26
	s_cbranch_scc1 .LBB0_60
.LBB0_48:                               ;   in Loop: Header=BB0_46 Depth=2
	v_cvt_f64_i32_e32 v[48:49], s55
	s_mul_i32 s57, s55, s55
.LBB0_49:                               ;   Parent Loop BB0_28 Depth=1
                                        ;     Parent Loop BB0_46 Depth=2
                                        ; =>    This Loop Header: Depth=3
                                        ;         Child Loop BB0_56 Depth 4
	s_or_b32 s4, s56, s55
	s_delay_alu instid0(SALU_CYCLE_1) | instskip(SKIP_1) | instid1(SALU_CYCLE_1)
	s_cmp_lg_u32 s4, 0
	s_cselect_b32 s58, s50, 1
	s_cmp_gt_i32 s58, s26
	s_cbranch_scc1 .LBB0_58
; %bb.50:                               ;   in Loop: Header=BB0_49 Depth=3
	v_cvt_f64_i32_e32 v[50:51], s56
	s_mul_i32 s59, s56, s56
	s_delay_alu instid0(SALU_CYCLE_1) | instskip(SKIP_1) | instid1(SALU_CYCLE_1)
	s_add_co_i32 s59, s59, s57
	s_mul_i32 s4, s58, s58
	s_add_co_i32 s4, s59, s4
	s_delay_alu instid0(SALU_CYCLE_1)
	s_cmp_gt_u32 s4, s51
	s_cbranch_scc1 .LBB0_56
.LBB0_51:                               ;   in Loop: Header=BB0_49 Depth=3
	s_load_b512 s[4:19], s[28:29], 0x0
	v_cvt_f64_i32_e32 v[62:63], s58
                                        ; implicit-def: $vgpr31
	s_wait_kmcnt 0x0
	v_mul_f64_e64 v[52:53], s[6:7], s[40:41]
	v_mul_f64_e64 v[54:55], s[4:5], s[40:41]
	v_mul_f64_e64 v[58:59], s[12:13], s[40:41]
	v_mul_f64_e64 v[60:61], s[10:11], s[40:41]
	v_mul_f64_e64 v[64:65], s[18:19], s[40:41]
	s_load_b64 s[4:5], s[28:29], 0x40
	v_fma_f64 v[52:53], v[52:53], v[48:49], 0
	v_fma_f64 v[56:57], v[54:55], v[48:49], 0
	v_mul_f64_e64 v[54:55], s[8:9], s[40:41]
	s_delay_alu instid0(VALU_DEP_3) | instskip(NEXT) | instid1(VALU_DEP_3)
	v_fmac_f64_e32 v[52:53], v[58:59], v[50:51]
	v_fmac_f64_e32 v[56:57], v[60:61], v[50:51]
	v_mul_f64_e64 v[60:61], s[16:17], s[40:41]
	s_delay_alu instid0(VALU_DEP_4) | instskip(SKIP_2) | instid1(VALU_DEP_4)
	v_fma_f64 v[58:59], v[54:55], v[48:49], 0
	v_mul_f64_e64 v[54:55], s[14:15], s[40:41]
	v_fmac_f64_e32 v[52:53], v[64:65], v[62:63]
                                        ; implicit-def: $vgpr64_vgpr65
	v_fmac_f64_e32 v[56:57], v[60:61], v[62:63]
	s_wait_kmcnt 0x0
	v_mul_f64_e64 v[60:61], s[4:5], s[40:41]
	s_delay_alu instid0(VALU_DEP_4) | instskip(NEXT) | instid1(VALU_DEP_4)
	v_fmac_f64_e32 v[58:59], v[54:55], v[50:51]
	v_mul_f64_e32 v[54:55], v[38:39], v[52:53]
	s_delay_alu instid0(VALU_DEP_2) | instskip(NEXT) | instid1(VALU_DEP_2)
	v_fmac_f64_e32 v[58:59], v[60:61], v[62:63]
                                        ; implicit-def: $vgpr62_vgpr63
	v_fmac_f64_e32 v[54:55], v[40:41], v[56:57]
	s_delay_alu instid0(VALU_DEP_1) | instskip(NEXT) | instid1(VALU_DEP_1)
	v_fmac_f64_e32 v[54:55], v[42:43], v[58:59]
	v_cmp_ngt_f64_e64 s4, 0x41d00000, |v[54:55]|
	s_and_saveexec_b32 s5, s4
	s_delay_alu instid0(SALU_CYCLE_1)
	s_xor_b32 s4, exec_lo, s5
	s_cbranch_execz .LBB0_53
; %bb.52:                               ;   in Loop: Header=BB0_49 Depth=3
	v_ldexp_f64 v[60:61], |v[54:55]|, 0xffffff80
	v_cmp_le_f64_e64 vcc_lo, 0x7b000000, |v[54:55]|
	v_trig_preop_f64 v[62:63], |v[54:55]|, 0
	v_and_b32_e32 v1, 0x7fffffff, v55
	v_trig_preop_f64 v[64:65], |v[54:55]|, 1
	v_trig_preop_f64 v[76:77], |v[54:55]|, 2
	s_delay_alu instid0(VALU_DEP_3) | instskip(NEXT) | instid1(VALU_DEP_1)
	v_dual_cndmask_b32 v61, v1, v61 :: v_dual_cndmask_b32 v60, v54, v60
	v_mul_f64_e32 v[68:69], v[62:63], v[60:61]
	s_delay_alu instid0(VALU_DEP_4) | instskip(NEXT) | instid1(VALU_DEP_4)
	v_mul_f64_e32 v[70:71], v[64:65], v[60:61]
	v_mul_f64_e32 v[82:83], v[76:77], v[60:61]
	s_delay_alu instid0(VALU_DEP_3) | instskip(NEXT) | instid1(VALU_DEP_3)
	v_fma_f64 v[62:63], v[62:63], v[60:61], -v[68:69]
	v_fma_f64 v[64:65], v[64:65], v[60:61], -v[70:71]
	s_delay_alu instid0(VALU_DEP_3) | instskip(NEXT) | instid1(VALU_DEP_3)
	v_fma_f64 v[60:61], v[76:77], v[60:61], -v[82:83]
	v_add_f64_e32 v[72:73], v[70:71], v[62:63]
	s_delay_alu instid0(VALU_DEP_1) | instskip(SKIP_1) | instid1(VALU_DEP_2)
	v_add_f64_e64 v[74:75], v[72:73], -v[70:71]
	v_add_f64_e32 v[80:81], v[68:69], v[72:73]
	v_add_f64_e64 v[78:79], v[72:73], -v[74:75]
	v_add_f64_e64 v[62:63], v[62:63], -v[74:75]
	s_delay_alu instid0(VALU_DEP_3) | instskip(NEXT) | instid1(VALU_DEP_3)
	v_ldexp_f64 v[74:75], v[80:81], -2
	v_add_f64_e64 v[70:71], v[70:71], -v[78:79]
	v_add_f64_e32 v[78:79], v[82:83], v[64:65]
	s_delay_alu instid0(VALU_DEP_3) | instskip(NEXT) | instid1(VALU_DEP_3)
	v_cmp_neq_f64_e64 vcc_lo, 0x7ff00000, |v[74:75]|
	v_add_f64_e32 v[62:63], v[62:63], v[70:71]
	v_fract_f64_e32 v[70:71], v[74:75]
	s_delay_alu instid0(VALU_DEP_1) | instskip(NEXT) | instid1(VALU_DEP_1)
	v_ldexp_f64 v[70:71], v[70:71], 2
	v_dual_add_f64 v[68:69], v[80:81], -v[68:69] :: v_dual_cndmask_b32 v71, 0, v71, vcc_lo
	s_delay_alu instid0(VALU_DEP_1) | instskip(SKIP_1) | instid1(VALU_DEP_1)
	v_dual_add_f64 v[68:69], v[72:73], -v[68:69] :: v_dual_cndmask_b32 v70, 0, v70, vcc_lo
	v_add_f64_e32 v[72:73], v[78:79], v[62:63]
	v_add_f64_e32 v[74:75], v[68:69], v[72:73]
	v_add_f64_e64 v[84:85], v[72:73], -v[78:79]
	s_delay_alu instid0(VALU_DEP_2) | instskip(NEXT) | instid1(VALU_DEP_2)
	v_add_f64_e32 v[80:81], v[74:75], v[70:71]
	v_add_f64_e64 v[90:91], v[72:73], -v[84:85]
	v_add_f64_e64 v[62:63], v[62:63], -v[84:85]
	;; [unrolled: 1-line block ×3, first 2 shown]
	s_delay_alu instid0(VALU_DEP_4) | instskip(SKIP_1) | instid1(VALU_DEP_3)
	v_cmp_gt_f64_e32 vcc_lo, 0, v[80:81]
	v_add_f64_e64 v[80:81], v[78:79], -v[82:83]
	v_add_f64_e64 v[68:69], v[72:73], -v[68:69]
	v_cndmask_b32_e64 v1, 0, 0x40100000, vcc_lo
	s_delay_alu instid0(VALU_DEP_3) | instskip(SKIP_2) | instid1(VALU_DEP_4)
	v_add_f64_e64 v[88:89], v[78:79], -v[80:81]
	v_add_f64_e64 v[64:65], v[64:65], -v[80:81]
	;; [unrolled: 1-line block ×3, first 2 shown]
	v_add_f64_e32 v[70:71], v[70:71], v[0:1]
	s_delay_alu instid0(VALU_DEP_4) | instskip(NEXT) | instid1(VALU_DEP_3)
	v_add_f64_e64 v[80:81], v[82:83], -v[88:89]
	v_add_f64_e32 v[62:63], v[62:63], v[78:79]
	s_delay_alu instid0(VALU_DEP_3) | instskip(NEXT) | instid1(VALU_DEP_3)
	v_add_f64_e32 v[86:87], v[74:75], v[70:71]
	v_add_f64_e32 v[64:65], v[64:65], v[80:81]
	s_delay_alu instid0(VALU_DEP_2) | instskip(NEXT) | instid1(VALU_DEP_2)
	v_cvt_i32_f64_e32 v1, v[86:87]
	v_add_f64_e32 v[62:63], v[64:65], v[62:63]
	s_delay_alu instid0(VALU_DEP_2) | instskip(NEXT) | instid1(VALU_DEP_2)
	v_cvt_f64_i32_e32 v[84:85], v1
	v_add_f64_e32 v[60:61], v[60:61], v[62:63]
	s_delay_alu instid0(VALU_DEP_2) | instskip(NEXT) | instid1(VALU_DEP_2)
	v_add_f64_e64 v[70:71], v[70:71], -v[84:85]
	v_add_f64_e32 v[60:61], v[68:69], v[60:61]
	s_delay_alu instid0(VALU_DEP_2) | instskip(NEXT) | instid1(VALU_DEP_1)
	v_add_f64_e32 v[64:65], v[74:75], v[70:71]
	v_add_f64_e64 v[62:63], v[64:65], -v[70:71]
	v_cmp_le_f64_e32 vcc_lo, 0.5, v[64:65]
	s_delay_alu instid0(VALU_DEP_2) | instskip(SKIP_2) | instid1(VALU_DEP_3)
	v_add_f64_e64 v[62:63], v[74:75], -v[62:63]
	v_add_co_ci_u32_e64 v31, null, 0, v1, vcc_lo
	v_cndmask_b32_e64 v1, 0, 0x3ff00000, vcc_lo
	v_add_f64_e32 v[60:61], v[60:61], v[62:63]
	s_delay_alu instid0(VALU_DEP_2) | instskip(NEXT) | instid1(VALU_DEP_1)
	v_add_f64_e64 v[62:63], v[64:65], -v[0:1]
	v_add_f64_e32 v[64:65], v[62:63], v[60:61]
	s_delay_alu instid0(VALU_DEP_1) | instskip(SKIP_1) | instid1(VALU_DEP_2)
	v_mul_f64_e32 v[68:69], 0x3ff921fb54442d18, v[64:65]
	v_add_f64_e64 v[62:63], v[64:65], -v[62:63]
	v_fma_f64 v[70:71], v[64:65], s[42:43], -v[68:69]
	s_delay_alu instid0(VALU_DEP_2) | instskip(NEXT) | instid1(VALU_DEP_2)
	v_add_f64_e64 v[60:61], v[60:61], -v[62:63]
	v_fmac_f64_e32 v[70:71], 0x3c91a62633145c07, v[64:65]
	s_delay_alu instid0(VALU_DEP_1) | instskip(NEXT) | instid1(VALU_DEP_1)
	v_fmac_f64_e32 v[70:71], 0x3ff921fb54442d18, v[60:61]
	v_add_f64_e32 v[62:63], v[68:69], v[70:71]
	s_delay_alu instid0(VALU_DEP_1) | instskip(NEXT) | instid1(VALU_DEP_1)
	v_add_f64_e64 v[60:61], v[62:63], -v[68:69]
	v_add_f64_e64 v[64:65], v[70:71], -v[60:61]
.LBB0_53:                               ;   in Loop: Header=BB0_49 Depth=3
	s_and_not1_saveexec_b32 s4, s4
	s_cbranch_execz .LBB0_55
; %bb.54:                               ;   in Loop: Header=BB0_49 Depth=3
	v_mul_f64_e64 v[60:61], |v[54:55]|, s[44:45]
	s_delay_alu instid0(VALU_DEP_1) | instskip(NEXT) | instid1(VALU_DEP_1)
	v_rndne_f64_e32 v[60:61], v[60:61]
	v_fma_f64 v[62:63], v[60:61], s[46:47], |v[54:55]|
	v_mul_f64_e32 v[64:65], 0xbc91a62633145c00, v[60:61]
	v_cvt_i32_f64_e32 v31, v[60:61]
	s_delay_alu instid0(VALU_DEP_3) | instskip(NEXT) | instid1(VALU_DEP_3)
	v_fmamk_f64 v[72:73], v[60:61], 0xbc91a62633145c00, v[62:63]
	v_add_f64_e32 v[68:69], v[62:63], v[64:65]
	s_delay_alu instid0(VALU_DEP_1) | instskip(NEXT) | instid1(VALU_DEP_3)
	v_add_f64_e64 v[70:71], v[62:63], -v[68:69]
	v_add_f64_e64 v[62:63], v[68:69], -v[72:73]
	s_delay_alu instid0(VALU_DEP_2) | instskip(SKIP_1) | instid1(VALU_DEP_2)
	v_add_f64_e32 v[68:69], v[70:71], v[64:65]
	v_fmamk_f64 v[64:65], v[60:61], 0x3c91a62633145c00, v[64:65]
	v_add_f64_e32 v[62:63], v[62:63], v[68:69]
	s_delay_alu instid0(VALU_DEP_1) | instskip(NEXT) | instid1(VALU_DEP_1)
	v_add_f64_e64 v[64:65], v[62:63], -v[64:65]
	v_fmac_f64_e32 v[64:65], 0xb97b839a252049c0, v[60:61]
	s_delay_alu instid0(VALU_DEP_1) | instskip(NEXT) | instid1(VALU_DEP_1)
	v_add_f64_e32 v[62:63], v[72:73], v[64:65]
	v_add_f64_e64 v[68:69], v[62:63], -v[72:73]
	s_delay_alu instid0(VALU_DEP_1)
	v_add_f64_e64 v[64:65], v[64:65], -v[68:69]
.LBB0_55:                               ;   in Loop: Header=BB0_49 Depth=3
	s_or_b32 exec_lo, exec_lo, s4
	v_mul_f64_e32 v[60:61], v[52:53], v[52:53]
	s_cmp_eq_u32 s36, 1
	v_cmp_class_f64_e64 s8, v[54:55], 0x1f8
	s_cselect_b32 s4, -1, 0
	s_cmp_eq_u32 s36, 2
	s_cselect_b32 s5, -1, 0
	v_fmac_f64_e32 v[60:61], v[56:57], v[56:57]
	s_delay_alu instid0(VALU_DEP_1) | instskip(NEXT) | instid1(VALU_DEP_1)
	v_fmac_f64_e32 v[60:61], v[58:59], v[58:59]
	v_div_scale_f64 v[68:69], null, v[16:17], v[16:17], -v[60:61]
	v_div_scale_f64 v[74:75], vcc_lo, -v[60:61], v[16:17], -v[60:61]
	s_delay_alu instid0(VALU_DEP_2) | instskip(SKIP_1) | instid1(TRANS32_DEP_1)
	v_rcp_f64_e32 v[70:71], v[68:69]
	v_nop
	v_fma_f64 v[72:73], -v[68:69], v[70:71], 1.0
	s_delay_alu instid0(VALU_DEP_1) | instskip(NEXT) | instid1(VALU_DEP_1)
	v_fmac_f64_e32 v[70:71], v[70:71], v[72:73]
	v_fma_f64 v[72:73], -v[68:69], v[70:71], 1.0
	s_delay_alu instid0(VALU_DEP_1) | instskip(NEXT) | instid1(VALU_DEP_1)
	v_fmac_f64_e32 v[70:71], v[70:71], v[72:73]
	v_mul_f64_e32 v[72:73], v[74:75], v[70:71]
	s_delay_alu instid0(VALU_DEP_1) | instskip(NEXT) | instid1(VALU_DEP_1)
	v_fma_f64 v[68:69], -v[68:69], v[72:73], v[74:75]
	v_div_fmas_f64 v[68:69], v[68:69], v[70:71], v[72:73]
	v_mul_f64_e32 v[72:73], v[62:63], v[62:63]
	s_delay_alu instid0(VALU_DEP_2) | instskip(NEXT) | instid1(VALU_DEP_1)
	v_div_fixup_f64 v[68:69], v[68:69], v[16:17], -v[60:61]
	v_mul_f64_e32 v[70:71], 0x3ff71547652b82fe, v[68:69]
	v_cmp_nlt_f64_e32 vcc_lo, 0x40900000, v[68:69]
	v_cmp_ngt_f64_e64 s6, 0xc090cc00, v[68:69]
	s_delay_alu instid0(VALU_DEP_3) | instskip(NEXT) | instid1(VALU_DEP_1)
	v_rndne_f64_e32 v[70:71], v[70:71]
	v_fmamk_f64 v[74:75], v[70:71], 0xbfe62e42fefa39ef, v[68:69]
	v_cvt_i32_f64_e32 v1, v[70:71]
	s_delay_alu instid0(VALU_DEP_2) | instskip(NEXT) | instid1(VALU_DEP_1)
	v_fmac_f64_e32 v[74:75], 0xbc7abc9e3b39803f, v[70:71]
	v_fmamk_f64 v[80:81], v[74:75], 0x3e5ade156a5dcb37, v[32:33]
	s_delay_alu instid0(VALU_DEP_1) | instskip(NEXT) | instid1(VALU_DEP_1)
	v_fmaak_f64 v[80:81], v[74:75], v[80:81], 0x3ec71dee623fde64
	v_fmaak_f64 v[80:81], v[74:75], v[80:81], 0x3efa01997c89e6b0
	s_delay_alu instid0(VALU_DEP_1) | instskip(NEXT) | instid1(VALU_DEP_1)
	v_fmaak_f64 v[80:81], v[74:75], v[80:81], 0x3f2a01a014761f6e
	v_fmaak_f64 v[80:81], v[74:75], v[80:81], 0x3f56c16c1852b7b0
	s_delay_alu instid0(VALU_DEP_1) | instskip(NEXT) | instid1(VALU_DEP_1)
	v_fmaak_f64 v[80:81], v[74:75], v[80:81], 0x3f81111111122322
	v_fmaak_f64 v[80:81], v[74:75], v[80:81], 0x3fa55555555502a1
	s_delay_alu instid0(VALU_DEP_1) | instskip(NEXT) | instid1(VALU_DEP_1)
	v_fmaak_f64 v[80:81], v[74:75], v[80:81], 0x3fc5555555555511
	v_fmaak_f64 v[80:81], v[74:75], v[80:81], 0x3fe000000000000b
	s_delay_alu instid0(VALU_DEP_1) | instskip(NEXT) | instid1(VALU_DEP_1)
	v_fma_f64 v[80:81], v[74:75], v[80:81], 1.0
	v_fma_f64 v[70:71], v[74:75], v[80:81], 1.0
	s_delay_alu instid0(VALU_DEP_1) | instskip(SKIP_4) | instid1(VALU_DEP_4)
	v_ldexp_f64 v[70:71], v[70:71], v1
	v_dual_cndmask_b32 v1, v56, v52, s4 :: v_dual_cndmask_b32 v52, v57, v53, s4
	v_mul_f64_e32 v[76:77], 0.5, v[72:73]
	v_mul_f64_e32 v[82:83], 0.5, v[64:65]
	v_fmamk_f64 v[88:89], v[72:73], 0x3de5e0b2f9a43bb8, v[34:35]
	v_dual_cndmask_b32 v53, v52, v59, s5 :: v_dual_cndmask_b32 v52, v1, v58, s5
	v_dual_lshlrev_b32 v31, 30, v31 :: v_dual_bitop2_b32 v1, 1, v31 bitop3:0x40
	s_delay_alu instid0(VALU_DEP_3) | instskip(NEXT) | instid1(VALU_DEP_2)
	v_fmaak_f64 v[88:89], v[72:73], v[88:89], 0x3ec71de3796cde01
	v_cmp_eq_u32_e64 s7, 0, v1
	s_delay_alu instid0(VALU_DEP_3) | instskip(NEXT) | instid1(VALU_DEP_3)
	v_xor_b32_e32 v31, v31, v55
	v_fmaak_f64 v[88:89], v[72:73], v[88:89], 0xbf2a01a019e83e5c
	s_delay_alu instid0(VALU_DEP_1) | instskip(SKIP_2) | instid1(SALU_CYCLE_1)
	v_fmaak_f64 v[88:89], v[72:73], v[88:89], 0x3f81111111110bb3
	v_cndmask_b32_e32 v59, 0x7ff00000, v71, vcc_lo
	s_and_b32 vcc_lo, s6, vcc_lo
	v_dual_mul_f64 v[84:85], v[62:63], -v[72:73] :: v_dual_cndmask_b32 v58, 0, v70, vcc_lo
	v_add_f64_e64 v[78:79], -v[76:77], 1.0
	s_delay_alu instid0(VALU_DEP_3) | instskip(SKIP_1) | instid1(VALU_DEP_3)
	v_cndmask_b32_e64 v59, 0, v59, s6
	s_cmp_eq_u32 s36, 0
	v_fmac_f64_e32 v[82:83], v[84:85], v[88:89]
	v_mul_f64_e32 v[88:89], v[72:73], v[72:73]
	s_delay_alu instid0(VALU_DEP_4) | instskip(NEXT) | instid1(VALU_DEP_3)
	v_add_f64_e64 v[86:87], -v[78:79], 1.0
	v_fma_f64 v[82:83], v[72:73], v[82:83], -v[64:65]
	s_delay_alu instid0(VALU_DEP_2) | instskip(SKIP_1) | instid1(VALU_DEP_1)
	v_add_f64_e64 v[76:77], v[86:87], -v[76:77]
	v_mov_b64_e32 v[86:87], 0x3e21eeb69037ab78
	v_fmamk_f64 v[86:87], v[72:73], 0xbda907db46cc5e42, v[86:87]
	s_delay_alu instid0(VALU_DEP_1) | instskip(NEXT) | instid1(VALU_DEP_1)
	v_fmaak_f64 v[74:75], v[72:73], v[86:87], 0xbe927e4fa17f65f6
	v_fmaak_f64 v[74:75], v[72:73], v[74:75], 0x3efa01a019f4ec90
	s_delay_alu instid0(VALU_DEP_1) | instskip(SKIP_2) | instid1(VALU_DEP_3)
	v_fmaak_f64 v[74:75], v[72:73], v[74:75], 0xbf56c16c16c16967
	v_fmac_f64_e32 v[82:83], 0xbfc5555555555555, v[84:85]
	v_fma_f64 v[64:65], v[62:63], -v[64:65], v[76:77]
	v_fmaak_f64 v[72:73], v[72:73], v[74:75], 0x3fa5555555555555
	s_delay_alu instid0(VALU_DEP_3) | instskip(NEXT) | instid1(VALU_DEP_2)
	v_add_f64_e64 v[56:57], v[62:63], -v[82:83]
	v_fmac_f64_e32 v[64:65], v[88:89], v[72:73]
	s_delay_alu instid0(VALU_DEP_1) | instskip(NEXT) | instid1(VALU_DEP_1)
	v_add_f64_e32 v[62:63], v[78:79], v[64:65]
	v_dual_cndmask_b32 v54, v63, v57, s7 :: v_dual_cndmask_b32 v1, v62, v56, s7
	s_delay_alu instid0(VALU_DEP_1) | instskip(NEXT) | instid1(VALU_DEP_2)
	v_bitop3_b32 v31, v54, v31, 0x80000000 bitop3:0x78
	v_cndmask_b32_e64 v54, 0, v1, s8
	v_cndmask_b32_e64 v1, v3, v5, s4
	s_delay_alu instid0(VALU_DEP_3) | instskip(SKIP_2) | instid1(VALU_DEP_1)
	v_cndmask_b32_e64 v55, 0x7ff80000, v31, s8
	v_cndmask_b32_e64 v31, v2, v4, s4
	v_mul_f64_e32 v[52:53], v[44:45], v[52:53]
	v_mul_f64_e32 v[52:53], v[52:53], v[58:59]
	s_delay_alu instid0(VALU_DEP_1) | instskip(NEXT) | instid1(VALU_DEP_1)
	v_mul_f64_e32 v[52:53], v[52:53], v[54:55]
	v_div_scale_f64 v[54:55], null, v[60:61], v[60:61], v[52:53]
	s_delay_alu instid0(VALU_DEP_1) | instskip(SKIP_1) | instid1(TRANS32_DEP_1)
	v_rcp_f64_e32 v[56:57], v[54:55]
	v_nop
	v_fma_f64 v[58:59], -v[54:55], v[56:57], 1.0
	s_delay_alu instid0(VALU_DEP_1) | instskip(NEXT) | instid1(VALU_DEP_1)
	v_fmac_f64_e32 v[56:57], v[56:57], v[58:59]
	v_fma_f64 v[58:59], -v[54:55], v[56:57], 1.0
	s_delay_alu instid0(VALU_DEP_1) | instskip(SKIP_1) | instid1(VALU_DEP_1)
	v_fmac_f64_e32 v[56:57], v[56:57], v[58:59]
	v_div_scale_f64 v[58:59], vcc_lo, v[52:53], v[60:61], v[52:53]
	v_mul_f64_e32 v[62:63], v[58:59], v[56:57]
	s_delay_alu instid0(VALU_DEP_1) | instskip(NEXT) | instid1(VALU_DEP_1)
	v_fma_f64 v[54:55], -v[54:55], v[62:63], v[58:59]
	v_div_fmas_f64 v[54:55], v[54:55], v[56:57], v[62:63]
	s_cselect_b32 vcc_lo, -1, 0
	s_delay_alu instid0(VALU_DEP_1) | instskip(NEXT) | instid1(VALU_DEP_1)
	v_div_fixup_f64 v[52:53], v[54:55], v[60:61], v[52:53]
	v_mul_f64_e32 v[54:55], -2.0, v[52:53]
	global_atomic_add_f64 v[46:47], v[54:55], off offset:48 scope:SCOPE_DEV
	s_wait_xcnt 0x0
	v_dual_cndmask_b32 v55, v1, v7, s5 :: v_dual_cndmask_b32 v54, v31, v6, s5
	s_delay_alu instid0(VALU_DEP_1) | instskip(NEXT) | instid1(VALU_DEP_1)
	v_fmac_f64_e32 v[54:55], 2.0, v[52:53]
	v_dual_cndmask_b32 v7, v7, v55, s5 :: v_dual_cndmask_b32 v6, v6, v54, s5
	v_dual_cndmask_b32 v5, v5, v55, s4 :: v_dual_cndmask_b32 v4, v4, v54, s4
	v_dual_cndmask_b32 v3, v3, v55 :: v_dual_cndmask_b32 v2, v2, v54
.LBB0_56:                               ;   Parent Loop BB0_28 Depth=1
                                        ;     Parent Loop BB0_46 Depth=2
                                        ;       Parent Loop BB0_49 Depth=3
                                        ; =>      This Inner Loop Header: Depth=4
	s_add_co_i32 s4, s58, 1
	s_cmp_lt_i32 s58, s26
	s_cbranch_scc0 .LBB0_58
; %bb.57:                               ;   in Loop: Header=BB0_56 Depth=4
	s_mov_b32 s58, s4
	s_delay_alu instid0(SALU_CYCLE_1) | instskip(NEXT) | instid1(SALU_CYCLE_1)
	s_mul_i32 s4, s58, s58
	s_add_co_i32 s4, s59, s4
	s_delay_alu instid0(SALU_CYCLE_1)
	s_cmp_gt_u32 s4, s51
	s_cbranch_scc0 .LBB0_51
	s_branch .LBB0_56
.LBB0_58:                               ;   in Loop: Header=BB0_49 Depth=3
	s_add_co_i32 s4, s56, 1
	s_cmp_lt_i32 s56, s26
	s_cbranch_scc0 .LBB0_60
; %bb.59:                               ;   in Loop: Header=BB0_49 Depth=3
	s_mov_b32 s56, s4
	s_branch .LBB0_49
.LBB0_60:                               ;   Parent Loop BB0_28 Depth=1
                                        ;     Parent Loop BB0_46 Depth=2
                                        ; =>    This Inner Loop Header: Depth=3
	s_add_co_i32 s4, s55, 1
	s_cmp_lg_u32 s55, s26
	s_cbranch_scc0 .LBB0_45
; %bb.61:                               ;   in Loop: Header=BB0_60 Depth=3
	s_mov_b32 s55, s4
	s_delay_alu instid0(SALU_CYCLE_1) | instskip(SKIP_1) | instid1(SALU_CYCLE_1)
	s_cmp_lg_u32 s55, 0
	s_cselect_b32 s56, s50, 0
	s_cmp_gt_i32 s56, s26
	s_cbranch_scc0 .LBB0_48
	s_branch .LBB0_60
.LBB0_62:
	s_wait_xcnt 0x0
	v_mov_b32_e32 v2, 0
	s_delay_alu instid0(VALU_DEP_1)
	v_dual_mov_b32 v3, v2 :: v_dual_mov_b32 v4, v2
	v_dual_mov_b32 v5, v2 :: v_dual_mov_b32 v6, v2
	v_mov_b32_e32 v7, v2
.LBB0_63:
	global_atomic_add_f64 v[28:29], v[2:3], off offset:48 scope:SCOPE_DEV
	s_wait_xcnt 0x0
	global_atomic_add_f64 v[28:29], v[4:5], off offset:56 scope:SCOPE_DEV
	s_wait_xcnt 0x0
	global_atomic_add_f64 v[28:29], v[6:7], off offset:64 scope:SCOPE_DEV
	s_cmp_lg_u32 s30, 2
	s_cbranch_scc1 .LBB0_82
.LBB0_64:
	v_cmp_gt_i32_e32 vcc_lo, s31, v66
	s_wait_xcnt 0x0
	s_and_b32 exec_lo, exec_lo, vcc_lo
	s_cbranch_execz .LBB0_82
; %bb.65:
	v_mul_f64_e64 v[0:1], s[20:21], s[20:21]
	s_load_b64 s[24:25], s[0:1], 0x40
	s_wait_loadcnt 0x1
	s_wait_xcnt 0x0
	v_cmp_neq_f64_e64 s0, 0, v[22:23]
	v_cmp_neq_f64_e64 s1, 0, v[18:19]
	v_mov_b64_e32 v[32:33], 0x3e928af3fca7ab0c
	s_mov_b32 s3, 0
	v_div_scale_f64 v[2:3], null, v[0:1], v[0:1], 1.0
	v_div_scale_f64 v[10:11], vcc_lo, 1.0, v[0:1], 1.0
	s_delay_alu instid0(VALU_DEP_2) | instskip(SKIP_1) | instid1(TRANS32_DEP_1)
	v_rcp_f64_e32 v[4:5], v[2:3]
	v_nop
	v_fma_f64 v[6:7], -v[2:3], v[4:5], 1.0
	s_delay_alu instid0(VALU_DEP_1) | instskip(NEXT) | instid1(VALU_DEP_1)
	v_fmac_f64_e32 v[4:5], v[4:5], v[6:7]
	v_fma_f64 v[6:7], -v[2:3], v[4:5], 1.0
	s_delay_alu instid0(VALU_DEP_1) | instskip(NEXT) | instid1(VALU_DEP_1)
	v_fmac_f64_e32 v[4:5], v[4:5], v[6:7]
	v_mul_f64_e32 v[6:7], v[10:11], v[4:5]
	s_delay_alu instid0(VALU_DEP_1) | instskip(SKIP_2) | instid1(VALU_DEP_2)
	v_fma_f64 v[2:3], -v[2:3], v[6:7], v[10:11]
	s_wait_kmcnt 0x0
	v_mul_f64_e64 v[10:11], s[24:25], 0.5
	v_div_fmas_f64 v[2:3], v[2:3], v[4:5], v[6:7]
	v_mul_f64_e64 v[4:5], s[24:25], s[24:25]
	s_delay_alu instid0(VALU_DEP_3) | instskip(NEXT) | instid1(VALU_DEP_3)
	v_mul_f64_e32 v[6:7], s[24:25], v[10:11]
	v_div_fixup_f64 v[10:11], v[2:3], v[0:1], 1.0
	s_delay_alu instid0(VALU_DEP_3) | instskip(SKIP_1) | instid1(VALU_DEP_1)
	v_mul_f64_e32 v[16:17], s[24:25], v[4:5]
	v_mad_nc_i64_i32 v[0:1], 0x70, v66, s[34:35]
	v_add_nc_u64_e32 v[22:23], 56, v[0:1]
                                        ; implicit-def: $vgpr0_vgpr1
                                        ; implicit-def: $vgpr0_vgpr1
	;; [unrolled: 1-line block ×8, first 2 shown]
	s_branch .LBB0_69
.LBB0_66:                               ;   in Loop: Header=BB0_69 Depth=1
	s_or_b32 exec_lo, exec_lo, s5
.LBB0_67:                               ;   in Loop: Header=BB0_69 Depth=1
	s_delay_alu instid0(SALU_CYCLE_1)
	s_or_b32 exec_lo, exec_lo, s4
	global_atomic_add_f64 v[28:29], v[52:53], off offset:48 scope:SCOPE_DEV
	s_wait_xcnt 0x0
	v_xor_b32_e32 v53, 0x80000000, v53
	global_atomic_add_f64 v[22:23], v[52:53], off offset:-8 scope:SCOPE_DEV
	s_wait_xcnt 0x0
	global_atomic_add_f64 v[28:29], v[50:51], off offset:56 scope:SCOPE_DEV
	s_wait_xcnt 0x0
	v_xor_b32_e32 v51, 0x80000000, v51
	global_atomic_add_f64 v[22:23], v[50:51], off scope:SCOPE_DEV
	s_wait_xcnt 0x0
	global_atomic_add_f64 v[28:29], v[48:49], off offset:64 scope:SCOPE_DEV
	s_wait_xcnt 0x0
	v_xor_b32_e32 v49, 0x80000000, v49
	global_atomic_add_f64 v[22:23], v[48:49], off offset:8 scope:SCOPE_DEV
.LBB0_68:                               ;   in Loop: Header=BB0_69 Depth=1
	s_wait_xcnt 0x0
	s_or_b32 exec_lo, exec_lo, s26
	v_add_nc_u32_e32 v66, 1, v66
	v_add_nc_u64_e32 v[22:23], 0x70, v[22:23]
	s_delay_alu instid0(VALU_DEP_2) | instskip(SKIP_1) | instid1(SALU_CYCLE_1)
	v_cmp_le_i32_e32 vcc_lo, s31, v66
	s_or_b32 s3, vcc_lo, s3
	s_and_not1_b32 exec_lo, exec_lo, s3
	s_cbranch_execz .LBB0_82
.LBB0_69:                               ; =>This Inner Loop Header: Depth=1
	s_wait_loadcnt 0x1
	global_load_b32 v0, v[22:23], off offset:16
	s_mov_b32 s26, exec_lo
	s_wait_loadcnt 0x0
	s_wait_xcnt 0x0
	v_cmpx_ne_u32_e64 v30, v0
	s_cbranch_execz .LBB0_68
; %bb.70:                               ;   in Loop: Header=BB0_69 Depth=1
	s_clause 0x1
	global_load_b128 v[0:3], v[22:23], off offset:-56
	global_load_b64 v[34:35], v[22:23], off offset:-40
	s_load_b512 s[4:19], s[28:29], 0x0
	s_mov_b32 s2, exec_lo
	s_wait_loadcnt 0x1
	v_add_f64_e64 v[0:1], v[12:13], -v[0:1]
	v_add_f64_e64 v[2:3], v[14:15], -v[2:3]
	s_wait_loadcnt 0x0
	v_add_f64_e64 v[40:41], v[8:9], -v[34:35]
	s_wait_kmcnt 0x0
	s_delay_alu instid0(VALU_DEP_3) | instskip(SKIP_2) | instid1(VALU_DEP_3)
	v_fma_f64 v[36:37], s[4:5], v[0:1], 0
	v_fma_f64 v[34:35], s[10:11], v[0:1], 0
	;; [unrolled: 1-line block ×3, first 2 shown]
	v_fmac_f64_e32 v[36:37], s[6:7], v[2:3]
	s_delay_alu instid0(VALU_DEP_3) | instskip(NEXT) | instid1(VALU_DEP_3)
	v_fmac_f64_e32 v[34:35], s[12:13], v[2:3]
	v_fmac_f64_e32 v[38:39], s[18:19], v[2:3]
	s_delay_alu instid0(VALU_DEP_3) | instskip(NEXT) | instid1(VALU_DEP_3)
	v_fmac_f64_e32 v[36:37], s[8:9], v[40:41]
	v_fmac_f64_e32 v[34:35], s[14:15], v[40:41]
	s_load_b64 s[34:35], s[28:29], 0x40
	s_load_b512 s[4:19], s[22:23], 0x0
	s_wait_kmcnt 0x0
	s_delay_alu instid0(VALU_DEP_3) | instskip(NEXT) | instid1(VALU_DEP_3)
	v_fmac_f64_e32 v[38:39], s[34:35], v[40:41]
	v_rndne_f64_e32 v[36:37], v[36:37]
	s_delay_alu instid0(VALU_DEP_3) | instskip(NEXT) | instid1(VALU_DEP_3)
	v_rndne_f64_e32 v[34:35], v[34:35]
	v_rndne_f64_e32 v[38:39], v[38:39]
	s_delay_alu instid0(VALU_DEP_3) | instskip(SKIP_3) | instid1(VALU_DEP_3)
	v_fma_f64 v[42:43], v[36:37], s[10:11], 0
	v_fma_f64 v[44:45], v[36:37], s[4:5], 0
	;; [unrolled: 1-line block ×3, first 2 shown]
	s_load_b64 s[4:5], s[22:23], 0x40
	v_fmac_f64_e32 v[42:43], s[12:13], v[34:35]
	s_delay_alu instid0(VALU_DEP_3) | instskip(NEXT) | instid1(VALU_DEP_3)
	v_fmac_f64_e32 v[44:45], s[6:7], v[34:35]
	v_fmac_f64_e32 v[46:47], s[18:19], v[34:35]
	s_delay_alu instid0(VALU_DEP_3) | instskip(NEXT) | instid1(VALU_DEP_3)
	v_fmac_f64_e32 v[42:43], s[14:15], v[38:39]
	v_fmac_f64_e32 v[44:45], s[8:9], v[38:39]
	s_wait_kmcnt 0x0
	s_delay_alu instid0(VALU_DEP_3) | instskip(NEXT) | instid1(VALU_DEP_3)
	v_fmac_f64_e32 v[46:47], s[4:5], v[38:39]
	v_add_f64_e64 v[34:35], v[2:3], -v[42:43]
	s_delay_alu instid0(VALU_DEP_3) | instskip(NEXT) | instid1(VALU_DEP_3)
	v_add_f64_e64 v[36:37], v[0:1], -v[44:45]
	v_add_f64_e64 v[38:39], v[40:41], -v[46:47]
	s_delay_alu instid0(VALU_DEP_3) | instskip(NEXT) | instid1(VALU_DEP_1)
	v_mul_f64_e32 v[42:43], v[34:35], v[34:35]
	v_fmac_f64_e32 v[42:43], v[36:37], v[36:37]
	s_delay_alu instid0(VALU_DEP_1) | instskip(NEXT) | instid1(VALU_DEP_1)
	v_fmac_f64_e32 v[42:43], v[38:39], v[38:39]
	v_cmpx_nle_f64_e32 0, v[42:43]
	s_cbranch_execz .LBB0_72
; %bb.71:                               ;   in Loop: Header=BB0_69 Depth=1
	v_mul_f64_e32 v[42:43], v[2:3], v[2:3]
	v_mov_b64_e32 v[36:37], v[0:1]
	v_mov_b64_e32 v[34:35], v[2:3]
	;; [unrolled: 1-line block ×3, first 2 shown]
	s_delay_alu instid0(VALU_DEP_4) | instskip(NEXT) | instid1(VALU_DEP_1)
	v_fmac_f64_e32 v[42:43], v[0:1], v[0:1]
	v_fmac_f64_e32 v[42:43], v[40:41], v[40:41]
.LBB0_72:                               ;   in Loop: Header=BB0_69 Depth=1
	s_or_b32 exec_lo, exec_lo, s2
	s_delay_alu instid0(VALU_DEP_1) | instskip(SKIP_1) | instid1(VALU_DEP_1)
	v_cmp_gt_f64_e32 vcc_lo, 0x10000000, v[42:43]
	v_cndmask_b32_e64 v0, 0, 0x100, vcc_lo
	v_ldexp_f64 v[0:1], v[42:43], v0
	s_delay_alu instid0(VALU_DEP_1) | instskip(SKIP_1) | instid1(TRANS32_DEP_1)
	v_rsq_f64_e32 v[2:3], v[0:1]
	v_nop
	v_mul_f64_e32 v[40:41], v[0:1], v[2:3]
	v_mul_f64_e32 v[2:3], 0.5, v[2:3]
	s_delay_alu instid0(VALU_DEP_1) | instskip(NEXT) | instid1(VALU_DEP_1)
	v_fma_f64 v[42:43], -v[2:3], v[40:41], 0.5
	v_fmac_f64_e32 v[40:41], v[40:41], v[42:43]
	v_fmac_f64_e32 v[2:3], v[2:3], v[42:43]
	s_delay_alu instid0(VALU_DEP_2) | instskip(NEXT) | instid1(VALU_DEP_1)
	v_fma_f64 v[42:43], -v[40:41], v[40:41], v[0:1]
	v_fmac_f64_e32 v[40:41], v[42:43], v[2:3]
	s_delay_alu instid0(VALU_DEP_1) | instskip(NEXT) | instid1(VALU_DEP_1)
	v_fma_f64 v[42:43], -v[40:41], v[40:41], v[0:1]
	v_fmac_f64_e32 v[40:41], v[42:43], v[2:3]
	v_cndmask_b32_e64 v2, 0, 0xffffff80, vcc_lo
	v_cmp_class_f64_e64 vcc_lo, v[0:1], 0x260
	s_delay_alu instid0(VALU_DEP_2) | instskip(NEXT) | instid1(VALU_DEP_1)
	v_ldexp_f64 v[2:3], v[40:41], v2
	v_dual_cndmask_b32 v43, v3, v1 :: v_dual_cndmask_b32 v42, v2, v0
	s_delay_alu instid0(VALU_DEP_1)
	v_cmp_nlt_f64_e32 vcc_lo, s[20:21], v[42:43]
	s_and_b32 exec_lo, exec_lo, vcc_lo
	s_cbranch_execz .LBB0_68
; %bb.73:                               ;   in Loop: Header=BB0_69 Depth=1
	v_div_scale_f64 v[44:45], null, v[42:43], v[42:43], 1.0
	s_clause 0x2
	global_load_b64 v[62:63], v[22:23], off offset:-16
	global_load_b128 v[0:3], v[22:23], off offset:24
	global_load_b64 v[40:41], v[22:23], off offset:40
	v_mul_f64_e32 v[56:57], v[34:35], v[34:35]
	v_mul_f64_e32 v[58:59], v[36:37], v[36:37]
	;; [unrolled: 1-line block ×3, first 2 shown]
	v_mov_b64_e32 v[52:53], 0
	v_rcp_f64_e32 v[46:47], v[44:45]
	v_nop
	s_delay_alu instid0(TRANS32_DEP_1) | instskip(NEXT) | instid1(VALU_DEP_1)
	v_fma_f64 v[48:49], -v[44:45], v[46:47], 1.0
	v_fmac_f64_e32 v[46:47], v[46:47], v[48:49]
	s_delay_alu instid0(VALU_DEP_1) | instskip(NEXT) | instid1(VALU_DEP_1)
	v_fma_f64 v[48:49], -v[44:45], v[46:47], 1.0
	v_fmac_f64_e32 v[46:47], v[46:47], v[48:49]
	v_div_scale_f64 v[48:49], vcc_lo, 1.0, v[42:43], 1.0
	s_delay_alu instid0(VALU_DEP_1) | instskip(NEXT) | instid1(VALU_DEP_1)
	v_mul_f64_e32 v[50:51], v[48:49], v[46:47]
	v_fma_f64 v[44:45], -v[44:45], v[50:51], v[48:49]
	v_mov_b64_e32 v[48:49], 0
	s_delay_alu instid0(VALU_DEP_2) | instskip(SKIP_1) | instid1(VALU_DEP_2)
	v_div_fmas_f64 v[44:45], v[44:45], v[46:47], v[50:51]
	v_mov_b64_e32 v[50:51], 0
	v_div_fixup_f64 v[46:47], v[44:45], v[42:43], 1.0
	s_wait_loadcnt 0x2
	v_cmp_neq_f64_e32 vcc_lo, 0, v[62:63]
	s_delay_alu instid0(VALU_DEP_2) | instskip(SKIP_1) | instid1(VALU_DEP_1)
	v_mul_f64_e32 v[54:55], v[46:47], v[46:47]
	s_and_b32 s4, vcc_lo, s0
	v_mul_f64_e32 v[44:45], v[46:47], v[54:55]
	s_wait_xcnt 0x0
	s_and_saveexec_b32 s2, s4
	s_cbranch_execnz .LBB0_76
; %bb.74:                               ;   in Loop: Header=BB0_69 Depth=1
	s_or_b32 exec_lo, exec_lo, s2
	s_and_saveexec_b32 s2, s1
	s_cbranch_execnz .LBB0_77
.LBB0_75:                               ;   in Loop: Header=BB0_69 Depth=1
	s_or_b32 exec_lo, exec_lo, s2
	s_and_saveexec_b32 s4, s0
	s_cbranch_execz .LBB0_67
	s_branch .LBB0_80
.LBB0_76:                               ;   in Loop: Header=BB0_69 Depth=1
	v_mul_f64_e32 v[48:49], 0xc0080000, v[34:35]
	v_fma_f64 v[50:51], -2.0, v[58:59], v[56:57]
	v_add_f64_e32 v[52:53], v[56:57], v[60:61]
	v_mul_f64_e32 v[64:65], 0xc0080000, v[36:37]
	v_fma_f64 v[68:69], -2.0, v[56:57], v[58:59]
	v_add_f64_e32 v[70:71], v[58:59], v[60:61]
	v_mul_f64_e32 v[72:73], v[10:11], v[34:35]
	v_mul_f64_e32 v[76:77], v[10:11], v[36:37]
	v_fma_f64 v[78:79], -2.0, v[60:61], v[58:59]
	v_mul_f64_e32 v[62:63], v[44:45], v[62:63]
	v_mul_f64_e32 v[48:49], v[38:39], v[48:49]
	v_add_f64_e32 v[50:51], v[60:61], v[50:51]
	v_mul_f64_e32 v[52:53], v[10:11], v[52:53]
	v_mul_f64_e32 v[74:75], v[34:35], v[64:65]
	;; [unrolled: 1-line block ×3, first 2 shown]
	v_add_f64_e32 v[68:69], v[60:61], v[68:69]
	v_mul_f64_e32 v[70:71], v[10:11], v[70:71]
	v_mul_f64_e32 v[48:49], v[54:55], v[48:49]
	v_fma_f64 v[50:51], v[54:55], v[50:51], -v[52:53]
	v_mul_f64_e32 v[52:53], v[54:55], v[74:75]
	v_mul_f64_e32 v[64:65], v[54:55], v[64:65]
	v_fma_f64 v[68:69], v[54:55], v[68:69], -v[70:71]
	v_add_f64_e32 v[70:71], v[58:59], v[56:57]
	v_fmac_f64_e32 v[48:49], v[38:39], v[72:73]
	v_add_f64_e32 v[72:73], v[56:57], v[78:79]
	v_mul_f64_e32 v[50:51], v[24:25], v[50:51]
	v_fmac_f64_e32 v[52:53], v[34:35], v[76:77]
	v_fmac_f64_e32 v[64:65], v[38:39], v[76:77]
	v_mul_f64_e32 v[68:69], v[26:27], v[68:69]
	v_mul_f64_e32 v[70:71], v[10:11], v[70:71]
	;; [unrolled: 1-line block ×3, first 2 shown]
	v_fmac_f64_e32 v[50:51], v[26:27], v[52:53]
	s_delay_alu instid0(VALU_DEP_4) | instskip(NEXT) | instid1(VALU_DEP_4)
	v_fmac_f64_e32 v[68:69], v[24:25], v[52:53]
	v_fma_f64 v[52:53], v[54:55], v[72:73], -v[70:71]
	s_delay_alu instid0(VALU_DEP_4) | instskip(NEXT) | instid1(VALU_DEP_4)
	v_fmac_f64_e32 v[74:75], v[24:25], v[64:65]
	v_fmac_f64_e32 v[50:51], v[20:21], v[64:65]
	s_delay_alu instid0(VALU_DEP_4) | instskip(NEXT) | instid1(VALU_DEP_3)
	v_fmac_f64_e32 v[68:69], v[20:21], v[48:49]
	v_fmac_f64_e32 v[74:75], v[20:21], v[52:53]
	s_delay_alu instid0(VALU_DEP_3) | instskip(NEXT) | instid1(VALU_DEP_3)
	v_fma_f64 v[52:53], v[50:51], v[62:63], 0
	v_fma_f64 v[50:51], v[68:69], v[62:63], 0
	s_delay_alu instid0(VALU_DEP_3)
	v_fma_f64 v[48:49], v[74:75], v[62:63], 0
	s_or_b32 exec_lo, exec_lo, s2
	s_and_saveexec_b32 s2, s1
	s_cbranch_execz .LBB0_75
.LBB0_77:                               ;   in Loop: Header=BB0_69 Depth=1
	global_load_b64 v[62:63], v[22:23], off offset:48
	s_mov_b32 s4, exec_lo
	s_wait_loadcnt 0x0
	v_cmpx_neq_f64_e32 0, v[62:63]
	s_cbranch_execz .LBB0_79
; %bb.78:                               ;   in Loop: Header=BB0_69 Depth=1
	v_mul_f64_e32 v[62:63], 0xc0080000, v[36:37]
	v_mul_f64_e32 v[64:65], 0xc0080000, v[34:35]
	v_fma_f64 v[68:69], -2.0, v[56:57], v[58:59]
	v_add_f64_e32 v[70:71], v[58:59], v[60:61]
	v_fma_f64 v[74:75], -2.0, v[58:59], v[56:57]
	v_add_f64_e32 v[76:77], v[56:57], v[60:61]
	v_mul_f64_e32 v[78:79], v[10:11], v[36:37]
	v_mul_f64_e32 v[80:81], v[10:11], v[34:35]
	v_fma_f64 v[82:83], -2.0, v[60:61], v[58:59]
	v_add_f64_e32 v[58:59], v[58:59], v[56:57]
	v_mul_f64_e32 v[72:73], v[34:35], v[62:63]
	v_mul_f64_e32 v[64:65], v[38:39], v[64:65]
	;; [unrolled: 1-line block ×3, first 2 shown]
	v_add_f64_e32 v[68:69], v[60:61], v[68:69]
	v_mul_f64_e32 v[70:71], v[10:11], v[70:71]
	v_add_f64_e32 v[60:61], v[60:61], v[74:75]
	v_mul_f64_e32 v[74:75], v[10:11], v[76:77]
	;; [unrolled: 2-line block ×3, first 2 shown]
	v_mul_f64_e32 v[72:73], v[54:55], v[72:73]
	v_mul_f64_e32 v[64:65], v[54:55], v[64:65]
	;; [unrolled: 1-line block ×3, first 2 shown]
	v_fma_f64 v[68:69], v[54:55], v[68:69], -v[70:71]
	v_fma_f64 v[60:61], v[54:55], v[60:61], -v[74:75]
	;; [unrolled: 1-line block ×3, first 2 shown]
	v_mul_f64_e32 v[58:59], v[44:45], v[18:19]
	v_fmac_f64_e32 v[72:73], v[34:35], v[78:79]
	v_fmac_f64_e32 v[64:65], v[38:39], v[80:81]
	;; [unrolled: 1-line block ×3, first 2 shown]
	v_mul_f64_e32 v[68:69], v[68:69], v[2:3]
	s_delay_alu instid0(VALU_DEP_4) | instskip(NEXT) | instid1(VALU_DEP_4)
	v_mul_f64_e32 v[70:71], v[72:73], v[2:3]
	v_mul_f64_e32 v[74:75], v[64:65], v[2:3]
	s_delay_alu instid0(VALU_DEP_3) | instskip(NEXT) | instid1(VALU_DEP_3)
	v_fmac_f64_e32 v[68:69], v[72:73], v[0:1]
	v_fmac_f64_e32 v[70:71], v[60:61], v[0:1]
	s_delay_alu instid0(VALU_DEP_3) | instskip(NEXT) | instid1(VALU_DEP_3)
	v_fmac_f64_e32 v[74:75], v[62:63], v[0:1]
	v_fmac_f64_e32 v[68:69], v[64:65], v[40:41]
	;; [unrolled: 3-line block ×3, first 2 shown]
	s_delay_alu instid0(VALU_DEP_3) | instskip(NEXT) | instid1(VALU_DEP_3)
	v_fma_f64 v[50:51], -v[58:59], v[68:69], v[50:51]
	v_fma_f64 v[52:53], -v[58:59], v[70:71], v[52:53]
	s_delay_alu instid0(VALU_DEP_3)
	v_fma_f64 v[48:49], -v[58:59], v[74:75], v[48:49]
.LBB0_79:                               ;   in Loop: Header=BB0_69 Depth=1
	s_or_b32 exec_lo, exec_lo, s4
	s_delay_alu instid0(SALU_CYCLE_1)
	s_or_b32 exec_lo, exec_lo, s2
	s_and_saveexec_b32 s4, s0
	s_cbranch_execz .LBB0_67
.LBB0_80:                               ;   in Loop: Header=BB0_69 Depth=1
	global_load_b64 v[56:57], v[22:23], off offset:48
	s_mov_b32 s5, exec_lo
	s_wait_loadcnt 0x0
	v_cmpx_neq_f64_e32 0, v[56:57]
	s_cbranch_execz .LBB0_66
; %bb.81:                               ;   in Loop: Header=BB0_69 Depth=1
	v_mul_f64_e32 v[56:57], v[42:43], v[42:43]
	v_mul_f64_e64 v[62:63], v[42:43], -s[24:25]
	v_mul_f64_e32 v[78:79], v[54:55], v[44:45]
	v_mul_f64_e32 v[80:81], v[26:27], v[34:35]
	s_delay_alu instid0(VALU_DEP_4) | instskip(NEXT) | instid1(VALU_DEP_4)
	v_mul_f64_e32 v[58:59], v[42:43], v[56:57]
	v_mul_f64_e32 v[68:69], 0x3ff71547652b82fe, v[62:63]
	v_cmp_ngt_f64_e64 s2, 0xc090cc00, v[62:63]
	v_mul_f64_e32 v[54:55], v[54:55], v[78:79]
	v_fmac_f64_e32 v[80:81], v[24:25], v[36:37]
	v_mul_f64_e32 v[58:59], v[16:17], v[58:59]
	v_rndne_f64_e32 v[68:69], v[68:69]
	s_delay_alu instid0(VALU_DEP_4) | instskip(NEXT) | instid1(VALU_DEP_4)
	v_mul_f64_e32 v[54:55], 0xc02e0000, v[54:55]
	v_fmac_f64_e32 v[80:81], v[20:21], v[38:39]
	s_delay_alu instid0(VALU_DEP_4) | instskip(SKIP_2) | instid1(VALU_DEP_4)
	v_div_scale_f64 v[60:61], null, 0x40180000, 0x40180000, v[58:59]
	v_div_scale_f64 v[76:77], vcc_lo, v[58:59], 0x40180000, v[58:59]
	v_cvt_i32_f64_e32 v31, v[68:69]
	v_mul_f64_e32 v[54:55], v[80:81], v[54:55]
	s_delay_alu instid0(VALU_DEP_4) | instskip(SKIP_1) | instid1(TRANS32_DEP_1)
	v_rcp_f64_e32 v[64:65], v[60:61]
	v_nop
	v_fma_f64 v[70:71], -v[60:61], v[64:65], 1.0
	s_delay_alu instid0(VALU_DEP_1) | instskip(SKIP_1) | instid1(VALU_DEP_1)
	v_fmac_f64_e32 v[64:65], v[64:65], v[70:71]
	v_fmamk_f64 v[70:71], v[68:69], 0xbfe62e42fefa39ef, v[62:63]
	v_fmac_f64_e32 v[70:71], 0xbc7abc9e3b39803f, v[68:69]
	s_delay_alu instid0(VALU_DEP_3) | instskip(NEXT) | instid1(VALU_DEP_2)
	v_fma_f64 v[72:73], -v[60:61], v[64:65], 1.0
	v_fmamk_f64 v[74:75], v[70:71], 0x3e5ade156a5dcb37, v[32:33]
	s_delay_alu instid0(VALU_DEP_2) | instskip(NEXT) | instid1(VALU_DEP_2)
	v_fmac_f64_e32 v[64:65], v[64:65], v[72:73]
	v_fmaak_f64 v[72:73], v[70:71], v[74:75], 0x3ec71dee623fde64
	s_delay_alu instid0(VALU_DEP_1) | instskip(NEXT) | instid1(VALU_DEP_1)
	v_fmaak_f64 v[72:73], v[70:71], v[72:73], 0x3efa01997c89e6b0
	v_fmaak_f64 v[72:73], v[70:71], v[72:73], 0x3f2a01a014761f6e
	s_delay_alu instid0(VALU_DEP_1) | instskip(NEXT) | instid1(VALU_DEP_1)
	v_fmaak_f64 v[72:73], v[70:71], v[72:73], 0x3f56c16c1852b7b0
	v_fmaak_f64 v[72:73], v[70:71], v[72:73], 0x3f81111111122322
	v_mul_f64_e32 v[74:75], v[76:77], v[64:65]
	s_delay_alu instid0(VALU_DEP_2) | instskip(NEXT) | instid1(VALU_DEP_1)
	v_fmaak_f64 v[72:73], v[70:71], v[72:73], 0x3fa55555555502a1
	v_fmaak_f64 v[72:73], v[70:71], v[72:73], 0x3fc5555555555511
	s_delay_alu instid0(VALU_DEP_1) | instskip(NEXT) | instid1(VALU_DEP_1)
	v_fmaak_f64 v[72:73], v[70:71], v[72:73], 0x3fe000000000000b
	v_fma_f64 v[72:73], v[70:71], v[72:73], 1.0
	v_fma_f64 v[60:61], -v[60:61], v[74:75], v[76:77]
	v_fma_f64 v[76:77], s[24:25], v[46:47], v[4:5]
	s_delay_alu instid0(VALU_DEP_3)
	v_fma_f64 v[68:69], v[70:71], v[72:73], 1.0
	v_mul_f64_e32 v[70:71], v[34:35], v[2:3]
	v_fma_f64 v[72:73], s[24:25], v[42:43], 1.0
	v_mul_f64_e32 v[42:43], 0.5, v[42:43]
	v_div_fmas_f64 v[60:61], v[60:61], v[64:65], v[74:75]
	v_cmp_nlt_f64_e32 vcc_lo, 0x40900000, v[62:63]
	v_ldexp_f64 v[64:65], v[68:69], v31
	v_mul_f64_e32 v[68:69], v[26:27], v[2:3]
	v_fmac_f64_e32 v[70:71], v[36:37], v[0:1]
	v_fmac_f64_e32 v[72:73], v[6:7], v[56:57]
	v_mul_f64_e32 v[42:43], s[24:25], v[42:43]
	v_div_fixup_f64 v[56:57], v[60:61], 0x40180000, v[58:59]
	v_mul_f64_e32 v[60:61], 0x40080000, v[78:79]
	v_cndmask_b32_e32 v31, 0x7ff00000, v65, vcc_lo
	v_fmac_f64_e32 v[68:69], v[24:25], v[0:1]
	v_fmac_f64_e32 v[70:71], v[38:39], v[40:41]
	s_and_b32 vcc_lo, s2, vcc_lo
	v_mul_f64_e32 v[42:43], s[24:25], v[42:43]
	v_dual_cndmask_b32 v59, 0, v31, s2 :: v_dual_cndmask_b32 v58, 0, v64, vcc_lo
	v_add_f64_e32 v[56:57], v[72:73], v[56:57]
	s_delay_alu instid0(VALU_DEP_2)
	v_fma_f64 v[74:75], -v[72:73], v[58:59], 1.0
	v_mul_f64_e32 v[46:47], v[46:47], v[58:59]
	v_fmac_f64_e32 v[68:69], v[20:21], v[40:41]
	v_mul_f64_e32 v[54:55], v[54:55], v[70:71]
	v_mul_f64_e32 v[78:79], v[60:61], v[70:71]
	v_fma_f64 v[62:63], -v[56:57], v[58:59], 1.0
	s_delay_alu instid0(VALU_DEP_4) | instskip(SKIP_2) | instid1(VALU_DEP_4)
	v_mul_f64_e32 v[64:65], v[60:61], v[68:69]
	v_mul_f64_e32 v[60:61], v[80:81], v[60:61]
	v_mul_f64_e64 v[44:45], v[44:45], -v[68:69]
	v_mul_f64_e32 v[54:55], v[62:63], v[54:55]
	s_delay_alu instid0(VALU_DEP_1)
	v_fmac_f64_e32 v[54:55], v[74:75], v[64:65]
	v_mul_f64_e32 v[64:65], v[76:77], v[58:59]
	v_fmac_f64_e32 v[76:77], s[24:25], v[42:43]
	v_mul_f64_e32 v[42:43], s[24:25], v[46:47]
	v_mul_f64_e32 v[46:47], v[62:63], v[78:79]
	;; [unrolled: 1-line block ×7, first 2 shown]
	v_fma_f64 v[64:65], v[72:73], v[42:43], -v[64:65]
	v_fmac_f64_e32 v[74:75], v[24:25], v[46:47]
	v_fmac_f64_e32 v[78:79], v[26:27], v[46:47]
	;; [unrolled: 1-line block ×3, first 2 shown]
	v_mul_f64_e32 v[46:47], v[60:61], v[70:71]
	v_mul_f64_e32 v[44:45], v[64:65], v[44:45]
	v_fma_f64 v[42:43], v[56:57], v[42:43], -v[58:59]
	v_fmac_f64_e32 v[74:75], v[62:63], v[0:1]
	v_fmac_f64_e32 v[78:79], v[62:63], v[2:3]
	;; [unrolled: 1-line block ×3, first 2 shown]
	s_delay_alu instid0(VALU_DEP_4) | instskip(NEXT) | instid1(VALU_DEP_4)
	v_mul_f64_e32 v[0:1], v[42:43], v[46:47]
	v_fmac_f64_e32 v[74:75], v[36:37], v[44:45]
	s_delay_alu instid0(VALU_DEP_4) | instskip(NEXT) | instid1(VALU_DEP_4)
	v_fmac_f64_e32 v[78:79], v[34:35], v[44:45]
	v_fmac_f64_e32 v[54:55], v[38:39], v[44:45]
	s_delay_alu instid0(VALU_DEP_3) | instskip(NEXT) | instid1(VALU_DEP_3)
	v_fmac_f64_e32 v[74:75], v[36:37], v[0:1]
	v_fmac_f64_e32 v[78:79], v[34:35], v[0:1]
	s_delay_alu instid0(VALU_DEP_3) | instskip(NEXT) | instid1(VALU_DEP_3)
	v_fmac_f64_e32 v[54:55], v[38:39], v[0:1]
	v_add_f64_e32 v[52:53], v[52:53], v[74:75]
	s_delay_alu instid0(VALU_DEP_3) | instskip(NEXT) | instid1(VALU_DEP_3)
	v_add_f64_e32 v[50:51], v[50:51], v[78:79]
	v_add_f64_e32 v[48:49], v[48:49], v[54:55]
	s_branch .LBB0_66
.LBB0_82:
	s_sendmsg sendmsg(MSG_DEALLOC_VGPRS)
	s_endpgm
	.section	.rodata,"a",@progbits
	.p2align	6, 0x0
	.amdhsa_kernel _Z20calculateForceKernelP6atom_tidPKdS2_idiid
		.amdhsa_group_segment_fixed_size 0
		.amdhsa_private_segment_fixed_size 0
		.amdhsa_kernarg_size 328
		.amdhsa_user_sgpr_count 2
		.amdhsa_user_sgpr_dispatch_ptr 0
		.amdhsa_user_sgpr_queue_ptr 0
		.amdhsa_user_sgpr_kernarg_segment_ptr 1
		.amdhsa_user_sgpr_dispatch_id 0
		.amdhsa_user_sgpr_kernarg_preload_length 0
		.amdhsa_user_sgpr_kernarg_preload_offset 0
		.amdhsa_user_sgpr_private_segment_size 0
		.amdhsa_wavefront_size32 1
		.amdhsa_uses_dynamic_stack 0
		.amdhsa_enable_private_segment 0
		.amdhsa_system_sgpr_workgroup_id_x 1
		.amdhsa_system_sgpr_workgroup_id_y 0
		.amdhsa_system_sgpr_workgroup_id_z 0
		.amdhsa_system_sgpr_workgroup_info 0
		.amdhsa_system_vgpr_workitem_id 0
		.amdhsa_next_free_vgpr 96
		.amdhsa_next_free_sgpr 60
		.amdhsa_named_barrier_count 0
		.amdhsa_reserve_vcc 1
		.amdhsa_float_round_mode_32 0
		.amdhsa_float_round_mode_16_64 0
		.amdhsa_float_denorm_mode_32 3
		.amdhsa_float_denorm_mode_16_64 3
		.amdhsa_fp16_overflow 0
		.amdhsa_memory_ordered 1
		.amdhsa_forward_progress 1
		.amdhsa_inst_pref_size 73
		.amdhsa_round_robin_scheduling 0
		.amdhsa_exception_fp_ieee_invalid_op 0
		.amdhsa_exception_fp_denorm_src 0
		.amdhsa_exception_fp_ieee_div_zero 0
		.amdhsa_exception_fp_ieee_overflow 0
		.amdhsa_exception_fp_ieee_underflow 0
		.amdhsa_exception_fp_ieee_inexact 0
		.amdhsa_exception_int_div_zero 0
	.end_amdhsa_kernel
	.text
.Lfunc_end0:
	.size	_Z20calculateForceKernelP6atom_tidPKdS2_idiid, .Lfunc_end0-_Z20calculateForceKernelP6atom_tidPKdS2_idiid
                                        ; -- End function
	.set _Z20calculateForceKernelP6atom_tidPKdS2_idiid.num_vgpr, 96
	.set _Z20calculateForceKernelP6atom_tidPKdS2_idiid.num_agpr, 0
	.set _Z20calculateForceKernelP6atom_tidPKdS2_idiid.numbered_sgpr, 60
	.set _Z20calculateForceKernelP6atom_tidPKdS2_idiid.num_named_barrier, 0
	.set _Z20calculateForceKernelP6atom_tidPKdS2_idiid.private_seg_size, 0
	.set _Z20calculateForceKernelP6atom_tidPKdS2_idiid.uses_vcc, 1
	.set _Z20calculateForceKernelP6atom_tidPKdS2_idiid.uses_flat_scratch, 0
	.set _Z20calculateForceKernelP6atom_tidPKdS2_idiid.has_dyn_sized_stack, 0
	.set _Z20calculateForceKernelP6atom_tidPKdS2_idiid.has_recursion, 0
	.set _Z20calculateForceKernelP6atom_tidPKdS2_idiid.has_indirect_call, 0
	.section	.AMDGPU.csdata,"",@progbits
; Kernel info:
; codeLenInByte = 9296
; TotalNumSgprs: 62
; NumVgprs: 96
; ScratchSize: 0
; MemoryBound: 1
; FloatMode: 240
; IeeeMode: 1
; LDSByteSize: 0 bytes/workgroup (compile time only)
; SGPRBlocks: 0
; VGPRBlocks: 5
; NumSGPRsForWavesPerEU: 62
; NumVGPRsForWavesPerEU: 96
; NamedBarCnt: 0
; Occupancy: 10
; WaveLimiterHint : 1
; COMPUTE_PGM_RSRC2:SCRATCH_EN: 0
; COMPUTE_PGM_RSRC2:USER_SGPR: 2
; COMPUTE_PGM_RSRC2:TRAP_HANDLER: 0
; COMPUTE_PGM_RSRC2:TGID_X_EN: 1
; COMPUTE_PGM_RSRC2:TGID_Y_EN: 0
; COMPUTE_PGM_RSRC2:TGID_Z_EN: 0
; COMPUTE_PGM_RSRC2:TIDIG_COMP_CNT: 0
	.text
	.p2alignl 7, 3214868480
	.fill 96, 4, 3214868480
	.section	.AMDGPU.gpr_maximums,"",@progbits
	.set amdgpu.max_num_vgpr, 0
	.set amdgpu.max_num_agpr, 0
	.set amdgpu.max_num_sgpr, 0
	.text
	.type	__hip_cuid_a21342ad33568e40,@object ; @__hip_cuid_a21342ad33568e40
	.section	.bss,"aw",@nobits
	.globl	__hip_cuid_a21342ad33568e40
__hip_cuid_a21342ad33568e40:
	.byte	0                               ; 0x0
	.size	__hip_cuid_a21342ad33568e40, 1

	.ident	"AMD clang version 22.0.0git (https://github.com/RadeonOpenCompute/llvm-project roc-7.2.4 26084 f58b06dce1f9c15707c5f808fd002e18c2accf7e)"
	.section	".note.GNU-stack","",@progbits
	.addrsig
	.addrsig_sym __hip_cuid_a21342ad33568e40
	.amdgpu_metadata
---
amdhsa.kernels:
  - .args:
      - .address_space:  global
        .offset:         0
        .size:           8
        .value_kind:     global_buffer
      - .offset:         8
        .size:           4
        .value_kind:     by_value
      - .offset:         16
        .size:           8
        .value_kind:     by_value
      - .actual_access:  read_only
        .address_space:  global
        .offset:         24
        .size:           8
        .value_kind:     global_buffer
      - .actual_access:  read_only
        .address_space:  global
        .offset:         32
        .size:           8
        .value_kind:     global_buffer
      - .offset:         40
        .size:           4
        .value_kind:     by_value
      - .offset:         48
        .size:           8
        .value_kind:     by_value
      - .offset:         56
        .size:           4
        .value_kind:     by_value
      - .offset:         60
        .size:           4
        .value_kind:     by_value
      - .offset:         64
        .size:           8
        .value_kind:     by_value
      - .offset:         72
        .size:           4
        .value_kind:     hidden_block_count_x
      - .offset:         76
        .size:           4
        .value_kind:     hidden_block_count_y
      - .offset:         80
        .size:           4
        .value_kind:     hidden_block_count_z
      - .offset:         84
        .size:           2
        .value_kind:     hidden_group_size_x
      - .offset:         86
        .size:           2
        .value_kind:     hidden_group_size_y
      - .offset:         88
        .size:           2
        .value_kind:     hidden_group_size_z
      - .offset:         90
        .size:           2
        .value_kind:     hidden_remainder_x
      - .offset:         92
        .size:           2
        .value_kind:     hidden_remainder_y
      - .offset:         94
        .size:           2
        .value_kind:     hidden_remainder_z
      - .offset:         112
        .size:           8
        .value_kind:     hidden_global_offset_x
      - .offset:         120
        .size:           8
        .value_kind:     hidden_global_offset_y
      - .offset:         128
        .size:           8
        .value_kind:     hidden_global_offset_z
      - .offset:         136
        .size:           2
        .value_kind:     hidden_grid_dims
    .group_segment_fixed_size: 0
    .kernarg_segment_align: 8
    .kernarg_segment_size: 328
    .language:       OpenCL C
    .language_version:
      - 2
      - 0
    .max_flat_workgroup_size: 1024
    .name:           _Z20calculateForceKernelP6atom_tidPKdS2_idiid
    .private_segment_fixed_size: 0
    .sgpr_count:     62
    .sgpr_spill_count: 0
    .symbol:         _Z20calculateForceKernelP6atom_tidPKdS2_idiid.kd
    .uniform_work_group_size: 1
    .uses_dynamic_stack: false
    .vgpr_count:     96
    .vgpr_spill_count: 0
    .wavefront_size: 32
amdhsa.target:   amdgcn-amd-amdhsa--gfx1250
amdhsa.version:
  - 1
  - 2
...

	.end_amdgpu_metadata
